;; amdgpu-corpus repo=ROCm/rocFFT kind=compiled arch=gfx906 opt=O3
	.text
	.amdgcn_target "amdgcn-amd-amdhsa--gfx906"
	.amdhsa_code_object_version 6
	.protected	bluestein_single_back_len819_dim1_sp_op_CI_CI ; -- Begin function bluestein_single_back_len819_dim1_sp_op_CI_CI
	.globl	bluestein_single_back_len819_dim1_sp_op_CI_CI
	.p2align	8
	.type	bluestein_single_back_len819_dim1_sp_op_CI_CI,@function
bluestein_single_back_len819_dim1_sp_op_CI_CI: ; @bluestein_single_back_len819_dim1_sp_op_CI_CI
; %bb.0:
	s_load_dwordx4 s[0:3], s[4:5], 0x28
	v_mul_u32_u24_e32 v1, 0x231, v0
	v_add_u32_sdwa v60, s6, v1 dst_sel:DWORD dst_unused:UNUSED_PAD src0_sel:DWORD src1_sel:WORD_1
	v_mov_b32_e32 v61, 0
	s_waitcnt lgkmcnt(0)
	v_cmp_gt_u64_e32 vcc, s[0:1], v[60:61]
	s_and_saveexec_b64 s[0:1], vcc
	s_cbranch_execz .LBB0_23
; %bb.1:
	s_load_dwordx2 s[10:11], s[4:5], 0x0
	s_load_dwordx2 s[8:9], s[4:5], 0x38
	s_movk_i32 s0, 0x75
	v_mul_lo_u16_sdwa v1, v1, s0 dst_sel:DWORD dst_unused:UNUSED_PAD src0_sel:WORD_1 src1_sel:DWORD
	v_sub_u16_e32 v64, v0, v1
	s_movk_i32 s0, 0x5b
	v_cmp_gt_u16_e64 s[0:1], s0, v64
	v_lshlrev_b32_e32 v63, 3, v64
	s_and_saveexec_b64 s[6:7], s[0:1]
	s_cbranch_execz .LBB0_3
; %bb.2:
	s_load_dwordx2 s[12:13], s[4:5], 0x18
	s_waitcnt lgkmcnt(0)
	s_load_dwordx4 s[12:15], s[12:13], 0x0
	s_waitcnt lgkmcnt(0)
	v_mad_u64_u32 v[0:1], s[16:17], s14, v60, 0
	v_mad_u64_u32 v[2:3], s[16:17], s12, v64, 0
	;; [unrolled: 1-line block ×4, first 2 shown]
	v_mov_b32_e32 v1, v4
	v_lshlrev_b64 v[0:1], 3, v[0:1]
	v_mov_b32_e32 v3, v5
	v_mov_b32_e32 v6, s3
	v_lshlrev_b64 v[2:3], 3, v[2:3]
	v_add_co_u32_e32 v0, vcc, s2, v0
	v_addc_co_u32_e32 v1, vcc, v6, v1, vcc
	v_add_co_u32_e32 v0, vcc, v0, v2
	v_addc_co_u32_e32 v1, vcc, v1, v3, vcc
	v_mov_b32_e32 v2, s11
	v_add_co_u32_e32 v28, vcc, s10, v63
	s_mul_i32 s2, s13, 0x2d8
	s_mul_hi_u32 s3, s12, 0x2d8
	v_addc_co_u32_e32 v29, vcc, 0, v2, vcc
	s_add_i32 s2, s3, s2
	s_mul_i32 s3, s12, 0x2d8
	v_mov_b32_e32 v3, s2
	v_add_co_u32_e32 v2, vcc, s3, v0
	v_addc_co_u32_e32 v3, vcc, v1, v3, vcc
	v_mov_b32_e32 v5, s2
	v_add_co_u32_e32 v4, vcc, s3, v2
	v_addc_co_u32_e32 v5, vcc, v3, v5, vcc
	v_mov_b32_e32 v7, s2
	v_add_co_u32_e32 v6, vcc, s3, v4
	v_addc_co_u32_e32 v7, vcc, v5, v7, vcc
	global_load_dwordx2 v[8:9], v[0:1], off
	global_load_dwordx2 v[10:11], v[2:3], off
	;; [unrolled: 1-line block ×4, first 2 shown]
	global_load_dwordx2 v[16:17], v63, s[10:11]
	global_load_dwordx2 v[18:19], v63, s[10:11] offset:728
	global_load_dwordx2 v[20:21], v63, s[10:11] offset:1456
	;; [unrolled: 1-line block ×3, first 2 shown]
	v_mov_b32_e32 v1, s2
	v_add_co_u32_e32 v0, vcc, s3, v6
	v_addc_co_u32_e32 v1, vcc, v7, v1, vcc
	global_load_dwordx2 v[2:3], v[0:1], off
	v_mov_b32_e32 v4, s2
	v_add_co_u32_e32 v0, vcc, s3, v0
	v_addc_co_u32_e32 v1, vcc, v1, v4, vcc
	global_load_dwordx2 v[4:5], v[0:1], off
	global_load_dwordx2 v[6:7], v63, s[10:11] offset:2912
	global_load_dwordx2 v[24:25], v63, s[10:11] offset:3640
	v_mov_b32_e32 v26, s2
	v_add_co_u32_e32 v0, vcc, s3, v0
	v_addc_co_u32_e32 v1, vcc, v1, v26, vcc
	s_movk_i32 s12, 0x1000
	v_add_co_u32_e32 v28, vcc, s12, v28
	v_addc_co_u32_e32 v29, vcc, 0, v29, vcc
	global_load_dwordx2 v[26:27], v[0:1], off
	v_mov_b32_e32 v32, s2
	v_add_co_u32_e32 v0, vcc, s3, v0
	v_addc_co_u32_e32 v1, vcc, v1, v32, vcc
	global_load_dwordx2 v[30:31], v[28:29], off offset:272
	global_load_dwordx2 v[32:33], v[0:1], off
	global_load_dwordx2 v[34:35], v[28:29], off offset:1000
	v_mov_b32_e32 v36, s2
	v_add_co_u32_e32 v0, vcc, s3, v0
	v_addc_co_u32_e32 v1, vcc, v1, v36, vcc
	global_load_dwordx2 v[36:37], v[28:29], off offset:1728
	global_load_dwordx2 v[38:39], v[0:1], off
	s_waitcnt vmcnt(13)
	v_mul_f32_e32 v0, v9, v17
	v_mul_f32_e32 v1, v8, v17
	v_fmac_f32_e32 v0, v8, v16
	v_fma_f32 v1, v9, v16, -v1
	s_waitcnt vmcnt(12)
	v_mul_f32_e32 v8, v11, v19
	v_mul_f32_e32 v9, v10, v19
	v_fmac_f32_e32 v8, v10, v18
	v_fma_f32 v9, v11, v18, -v9
	ds_write2_b64 v63, v[0:1], v[8:9] offset1:91
	s_waitcnt vmcnt(11)
	v_mul_f32_e32 v0, v12, v21
	v_mul_f32_e32 v10, v13, v21
	v_fma_f32 v11, v13, v20, -v0
	s_waitcnt vmcnt(10)
	v_mul_f32_e32 v0, v15, v23
	v_mul_f32_e32 v1, v14, v23
	v_fmac_f32_e32 v10, v12, v20
	v_fmac_f32_e32 v0, v14, v22
	v_fma_f32 v1, v15, v22, -v1
	v_add_u32_e32 v8, 0x400, v63
	ds_write2_b64 v8, v[10:11], v[0:1] offset0:54 offset1:145
	s_waitcnt vmcnt(7)
	v_mul_f32_e32 v0, v3, v7
	v_mul_f32_e32 v1, v2, v7
	v_fmac_f32_e32 v0, v2, v6
	v_fma_f32 v1, v3, v6, -v1
	s_waitcnt vmcnt(6)
	v_mul_f32_e32 v2, v5, v25
	v_mul_f32_e32 v3, v4, v25
	v_fmac_f32_e32 v2, v4, v24
	v_fma_f32 v3, v5, v24, -v3
	v_add_u32_e32 v4, 0x800, v63
	ds_write2_b64 v4, v[0:1], v[2:3] offset0:108 offset1:199
	v_add_u32_e32 v4, 0x1000, v63
	s_waitcnt vmcnt(4)
	v_mul_f32_e32 v0, v27, v31
	v_mul_f32_e32 v1, v26, v31
	s_waitcnt vmcnt(2)
	v_mul_f32_e32 v2, v33, v35
	v_mul_f32_e32 v3, v32, v35
	v_fmac_f32_e32 v0, v26, v30
	v_fma_f32 v1, v27, v30, -v1
	v_fmac_f32_e32 v2, v32, v34
	v_fma_f32 v3, v33, v34, -v3
	ds_write2_b64 v4, v[0:1], v[2:3] offset0:34 offset1:125
	s_waitcnt vmcnt(0)
	v_mul_f32_e32 v0, v39, v37
	v_mul_f32_e32 v1, v38, v37
	v_fmac_f32_e32 v0, v38, v36
	v_fma_f32 v1, v39, v36, -v1
	ds_write_b64 v63, v[0:1] offset:5824
.LBB0_3:
	s_or_b64 exec, exec, s[6:7]
	s_load_dwordx2 s[2:3], s[4:5], 0x20
	s_load_dwordx2 s[12:13], s[4:5], 0x8
	v_mov_b32_e32 v2, 0
	v_mov_b32_e32 v3, 0
	;; [unrolled: 1-line block ×8, first 2 shown]
	s_waitcnt lgkmcnt(0)
	s_barrier
	s_waitcnt lgkmcnt(0)
                                        ; implicit-def: $vgpr10
                                        ; implicit-def: $vgpr16
	s_and_saveexec_b64 s[4:5], s[0:1]
	s_cbranch_execz .LBB0_5
; %bb.4:
	v_add_u32_e32 v4, 0x400, v63
	ds_read2_b64 v[12:15], v4 offset0:54 offset1:145
	v_add_u32_e32 v4, 0x800, v63
	v_add_u32_e32 v8, 0x1000, v63
	ds_read2_b64 v[0:3], v63 offset1:91
	ds_read2_b64 v[4:7], v4 offset0:108 offset1:199
	ds_read2_b64 v[8:11], v8 offset0:34 offset1:125
	ds_read_b64 v[16:17], v63 offset:5824
.LBB0_5:
	s_or_b64 exec, exec, s[4:5]
	s_waitcnt lgkmcnt(0)
	v_add_f32_e32 v20, v16, v2
	v_add_f32_e32 v23, v17, v3
	v_add_f32_e32 v22, v10, v12
	v_sub_f32_e32 v21, v2, v16
	v_sub_f32_e32 v16, v3, v17
	;; [unrolled: 1-line block ×4, first 2 shown]
	v_mov_b32_e32 v2, v0
	v_mov_b32_e32 v3, v1
	v_add_f32_e32 v24, v11, v13
	v_add_f32_e32 v18, v8, v14
	;; [unrolled: 1-line block ×3, first 2 shown]
	v_sub_f32_e32 v17, v14, v8
	v_sub_f32_e32 v25, v15, v9
	v_mul_f32_e32 v8, 0x3f7c1c5c, v12
	v_mul_f32_e32 v9, 0x3f7c1c5c, v10
	v_fmac_f32_e32 v2, 0x3f441b7d, v20
	v_fmac_f32_e32 v3, 0x3f441b7d, v23
	;; [unrolled: 1-line block ×8, first 2 shown]
	v_sub_f32_e32 v13, v4, v6
	v_sub_f32_e32 v11, v5, v7
	v_fmac_f32_e32 v2, -0.5, v18
	v_fmac_f32_e32 v3, -0.5, v19
	v_add_f32_e32 v14, v6, v4
	v_add_f32_e32 v15, v7, v5
	v_fmac_f32_e32 v8, 0x3eaf1d44, v13
	v_fmac_f32_e32 v9, 0x3eaf1d44, v11
	v_fmac_f32_e32 v2, 0xbf708fb2, v14
	v_fmac_f32_e32 v3, 0xbf708fb2, v15
	v_add_f32_e32 v2, v2, v9
	v_sub_f32_e32 v3, v3, v8
	s_mov_b32 s4, 0x3f7c1c5c
	v_fma_f32 v36, -2.0, v9, v2
	v_fma_f32 v37, 2.0, v8, v3
	v_mul_f32_e32 v8, 0x3f248dbb, v13
	v_mul_f32_e32 v9, 0x3f248dbb, v11
	v_fma_f32 v26, v21, s4, -v8
	v_fma_f32 v27, v16, s4, -v9
	v_mov_b32_e32 v8, v0
	v_mov_b32_e32 v9, v1
	v_fmac_f32_e32 v8, 0x3f441b7d, v14
	v_fmac_f32_e32 v9, 0x3f441b7d, v15
	;; [unrolled: 1-line block ×6, first 2 shown]
	v_fmac_f32_e32 v8, -0.5, v18
	v_fmac_f32_e32 v9, -0.5, v19
	v_fmac_f32_e32 v26, 0x3eaf1d44, v12
	v_fmac_f32_e32 v27, 0x3eaf1d44, v10
	;; [unrolled: 1-line block ×4, first 2 shown]
	v_add_f32_e32 v8, v27, v8
	v_sub_f32_e32 v9, v9, v26
	v_fma_f32 v42, -2.0, v27, v8
	v_fma_f32 v43, 2.0, v26, v9
	v_mul_lo_u16_e32 v65, 9, v64
	s_barrier
	s_and_saveexec_b64 s[4:5], s[0:1]
	s_cbranch_execz .LBB0_7
; %bb.6:
	v_mul_f32_e32 v28, 0x3f7c1c5c, v13
	s_mov_b32 s6, 0xbf248dbb
	v_mul_f32_e32 v17, 0x3f5db3d7, v17
	v_fma_f32 v28, v12, s6, -v28
	v_add_f32_e32 v17, v17, v28
	v_mov_b32_e32 v28, v1
	v_fmac_f32_e32 v28, 0x3f441b7d, v24
	v_mul_f32_e32 v26, 0.5, v19
	v_fmac_f32_e32 v28, 0x3e31d0d4, v15
	v_sub_f32_e32 v26, v28, v26
	v_fmac_f32_e32 v17, 0x3eaf1d44, v21
	v_fmac_f32_e32 v26, 0xbf708fb2, v23
	v_sub_f32_e32 v26, v26, v17
	v_fma_f32 v28, 2.0, v17, v26
	v_mul_f32_e32 v17, 0x3f7c1c5c, v11
	v_mul_f32_e32 v25, 0x3f5db3d7, v25
	v_fma_f32 v17, v10, s6, -v17
	v_add_f32_e32 v17, v25, v17
	v_mov_b32_e32 v25, v0
	v_fmac_f32_e32 v25, 0x3f441b7d, v22
	v_mul_f32_e32 v27, 0.5, v18
	v_fmac_f32_e32 v25, 0x3e31d0d4, v14
	v_sub_f32_e32 v25, v25, v27
	v_fmac_f32_e32 v17, 0x3eaf1d44, v16
	v_fmac_f32_e32 v25, 0xbf708fb2, v20
	v_add_f32_e32 v25, v25, v17
	v_fma_f32 v27, -2.0, v17, v25
	v_add_f32_e32 v17, v23, v24
	v_add_f32_e32 v23, v17, v19
	;; [unrolled: 1-line block ×16, first 2 shown]
	v_sub_f32_e32 v10, v11, v10
	v_fmac_f32_e32 v0, -0.5, v7
	v_sub_f32_e32 v6, v6, v12
	v_fmac_f32_e32 v1, -0.5, v13
	v_fmac_f32_e32 v0, 0x3f5db3d7, v10
	v_lshlrev_b32_e32 v7, 3, v65
	v_mul_f32_e32 v12, 0x3f5db3d7, v6
	v_fmac_f32_e32 v1, 0xbf5db3d7, v6
	v_mul_f32_e32 v11, 0x3f5db3d7, v10
	ds_write2_b64 v7, v[4:5], v[2:3] offset1:1
	v_mov_b32_e32 v5, v0
	v_fma_f32 v6, 2.0, v12, v1
	v_fmac_f32_e32 v5, -2.0, v11
	ds_write2_b64 v7, v[8:9], v[0:1] offset0:2 offset1:3
	ds_write2_b64 v7, v[25:26], v[27:28] offset0:4 offset1:5
	;; [unrolled: 1-line block ×3, first 2 shown]
	ds_write_b64 v7, v[36:37] offset:64
.LBB0_7:
	s_or_b64 exec, exec, s[4:5]
	v_mov_b32_e32 v0, 57
	v_mul_lo_u16_sdwa v0, v64, v0 dst_sel:DWORD dst_unused:UNUSED_PAD src0_sel:BYTE_0 src1_sel:DWORD
	v_lshrrev_b16_e32 v28, 9, v0
	v_mul_lo_u16_e32 v0, 9, v28
	v_sub_u16_e32 v0, v64, v0
	v_and_b32_e32 v29, 0xff, v0
	v_mul_u32_u24_e32 v0, 6, v29
	v_lshlrev_b32_e32 v12, 3, v0
	s_load_dwordx4 s[4:7], s[2:3], 0x0
	s_waitcnt lgkmcnt(0)
	s_barrier
	global_load_dwordx4 v[8:11], v12, s[12:13]
	global_load_dwordx4 v[4:7], v12, s[12:13] offset:16
	global_load_dwordx4 v[0:3], v12, s[12:13] offset:32
	v_add_u32_e32 v13, 0x400, v63
	v_add_u32_e32 v12, 0xc00, v63
	ds_read2_b64 v[14:17], v63 offset1:117
	ds_read_b64 v[26:27], v63 offset:5616
	ds_read2_b64 v[18:21], v13 offset0:106 offset1:223
	ds_read2_b64 v[22:25], v12 offset0:84 offset1:201
	s_mov_b32 s3, 0x3f3bfb3b
	s_mov_b32 s14, 0xbf3bfb3b
	;; [unrolled: 1-line block ×3, first 2 shown]
	s_waitcnt vmcnt(0) lgkmcnt(0)
	s_barrier
	s_waitcnt lgkmcnt(0)
                                        ; implicit-def: $vgpr56
                                        ; implicit-def: $vgpr61
	v_mul_f32_e32 v30, v17, v9
	v_mul_f32_e32 v31, v16, v9
	;; [unrolled: 1-line block ×12, first 2 shown]
	v_fma_f32 v18, v18, v10, -v32
	v_fmac_f32_e32 v33, v19, v10
	v_fma_f32 v19, v20, v4, -v34
	v_fmac_f32_e32 v35, v21, v4
	;; [unrolled: 2-line block ×6, first 2 shown]
	v_add_f32_e32 v22, v16, v21
	v_add_f32_e32 v23, v31, v45
	;; [unrolled: 1-line block ×4, first 2 shown]
	v_sub_f32_e32 v16, v16, v21
	v_sub_f32_e32 v21, v31, v45
	v_add_f32_e32 v26, v19, v17
	v_add_f32_e32 v27, v35, v39
	;; [unrolled: 1-line block ×4, first 2 shown]
	v_sub_f32_e32 v18, v18, v20
	v_sub_f32_e32 v20, v33, v41
	v_sub_f32_e32 v17, v17, v19
	v_sub_f32_e32 v19, v39, v35
	v_sub_f32_e32 v32, v24, v22
	v_sub_f32_e32 v33, v25, v23
	v_sub_f32_e32 v22, v22, v26
	v_sub_f32_e32 v23, v23, v27
	v_sub_f32_e32 v24, v26, v24
	v_sub_f32_e32 v25, v27, v25
	v_add_f32_e32 v26, v26, v30
	v_add_f32_e32 v27, v27, v31
	;; [unrolled: 1-line block ×4, first 2 shown]
	v_sub_f32_e32 v38, v17, v18
	v_sub_f32_e32 v39, v19, v20
	v_mul_f32_e32 v22, 0x3f4a47b2, v22
	v_mul_f32_e32 v30, 0x3d64c772, v24
	v_add_f32_e32 v44, v14, v26
	v_add_f32_e32 v45, v15, v27
	v_sub_f32_e32 v17, v16, v17
	v_sub_f32_e32 v19, v21, v19
	;; [unrolled: 1-line block ×4, first 2 shown]
	v_add_f32_e32 v16, v34, v16
	v_add_f32_e32 v21, v35, v21
	v_mul_f32_e32 v23, 0x3f4a47b2, v23
	v_mul_f32_e32 v34, 0xbf08b237, v38
	;; [unrolled: 1-line block ×3, first 2 shown]
	v_fma_f32 v14, v32, s3, -v30
	v_fma_f32 v15, v32, s14, -v22
	v_fmac_f32_e32 v22, 0x3d64c772, v24
	v_mov_b32_e32 v24, v44
	v_mov_b32_e32 v30, v45
	v_mul_f32_e32 v31, 0x3d64c772, v25
	v_mul_f32_e32 v38, 0x3f5ff5aa, v18
	v_fmac_f32_e32 v24, 0xbf955555, v26
	v_fmac_f32_e32 v30, 0xbf955555, v27
	v_fma_f32 v27, v33, s14, -v23
	v_fmac_f32_e32 v23, 0x3d64c772, v25
	v_mul_f32_e32 v25, 0x3f5ff5aa, v20
	v_fma_f32 v18, v18, s2, -v34
	v_fma_f32 v20, v20, s2, -v35
	s_mov_b32 s2, 0xbeae86e6
	v_fma_f32 v26, v33, s3, -v31
	v_fmac_f32_e32 v34, 0x3eae86e6, v17
	v_fmac_f32_e32 v35, 0x3eae86e6, v19
	v_fma_f32 v17, v17, s2, -v38
	v_fma_f32 v19, v19, s2, -v25
	v_add_f32_e32 v14, v14, v24
	v_fmac_f32_e32 v20, 0x3ee1c552, v21
	v_add_f32_e32 v22, v22, v24
	v_add_f32_e32 v23, v23, v30
	;; [unrolled: 1-line block ×5, first 2 shown]
	v_fmac_f32_e32 v34, 0x3ee1c552, v16
	v_fmac_f32_e32 v35, 0x3ee1c552, v21
	;; [unrolled: 1-line block ×5, first 2 shown]
	v_sub_f32_e32 v50, v14, v20
	v_add_f32_e32 v52, v20, v14
	v_mul_u32_u24_e32 v14, 63, v28
	v_add_f32_e32 v46, v35, v22
	v_sub_f32_e32 v47, v23, v34
	v_add_f32_e32 v48, v19, v15
	v_sub_f32_e32 v49, v24, v17
	;; [unrolled: 2-line block ×3, first 2 shown]
	v_sub_f32_e32 v54, v15, v19
	v_add_f32_e32 v55, v17, v24
	v_sub_f32_e32 v40, v22, v35
	v_add_f32_e32 v41, v34, v23
	v_add_lshl_u32 v66, v14, v29, 3
	v_cmp_gt_u16_e64 s[2:3], 63, v64
	ds_write2_b64 v66, v[44:45], v[46:47] offset1:9
	ds_write2_b64 v66, v[48:49], v[50:51] offset0:18 offset1:27
	ds_write2_b64 v66, v[52:53], v[54:55] offset0:36 offset1:45
	ds_write_b64 v66, v[40:41] offset:432
	s_waitcnt lgkmcnt(0)
	s_barrier
	s_and_saveexec_b64 s[14:15], s[2:3]
	s_cbranch_execz .LBB0_9
; %bb.8:
	ds_read2_b64 v[44:47], v63 offset1:63
	ds_read2_b64 v[48:51], v63 offset0:126 offset1:189
	ds_read2_b64 v[52:55], v13 offset0:124 offset1:187
	v_add_u32_e32 v13, 0x800, v63
	ds_read2_b64 v[40:43], v13 offset0:122 offset1:185
	ds_read2_b64 v[36:39], v12 offset0:120 offset1:183
	v_add_u32_e32 v12, 0x1000, v63
	ds_read2_b64 v[56:59], v12 offset0:118 offset1:181
	ds_read_b64 v[61:62], v63 offset:6048
.LBB0_9:
	s_or_b64 exec, exec, s[14:15]
	v_subrev_u32_e32 v12, 63, v64
	v_cndmask_b32_e64 v12, v12, v64, s[2:3]
	v_mul_hi_i32_i24_e32 v13, 0x60, v12
	v_mul_i32_i24_e32 v12, 0x60, v12
	v_mov_b32_e32 v14, s13
	v_add_co_u32_e32 v67, vcc, s12, v12
	v_addc_co_u32_e32 v68, vcc, v14, v13, vcc
	global_load_dwordx4 v[24:27], v[67:68], off offset:432
	global_load_dwordx4 v[16:19], v[67:68], off offset:448
	;; [unrolled: 1-line block ×6, first 2 shown]
	s_mov_b32 s12, 0x3f62ad3f
	s_mov_b32 s13, 0x3f116cb1
	;; [unrolled: 1-line block ×6, first 2 shown]
	s_waitcnt vmcnt(5) lgkmcnt(6)
	v_mul_f32_e32 v90, v46, v25
	v_mul_f32_e32 v89, v47, v25
	s_waitcnt vmcnt(3) lgkmcnt(3)
	v_mul_f32_e32 v77, v40, v15
	s_waitcnt vmcnt(2)
	v_mul_f32_e32 v72, v43, v21
	v_mul_f32_e32 v78, v42, v21
	s_waitcnt vmcnt(0) lgkmcnt(0)
	v_mul_f32_e32 v88, v61, v35
	v_mul_f32_e32 v79, v37, v23
	;; [unrolled: 1-line block ×5, first 2 shown]
	v_fmac_f32_e32 v88, v62, v34
	v_fmac_f32_e32 v90, v47, v24
	v_mul_f32_e32 v73, v48, v27
	v_mul_f32_e32 v68, v51, v17
	;; [unrolled: 1-line block ×10, first 2 shown]
	v_fmac_f32_e32 v77, v41, v14
	v_fma_f32 v41, v42, v20, -v72
	v_fmac_f32_e32 v78, v43, v20
	v_fma_f32 v42, v36, v22, -v79
	;; [unrolled: 2-line block ×3, first 2 shown]
	v_fma_f32 v36, v61, v34, -v87
	v_fma_f32 v37, v46, v24, -v89
	v_sub_f32_e32 v38, v90, v88
	v_mul_f32_e32 v67, v49, v27
	v_mul_f32_e32 v84, v56, v31
	;; [unrolled: 1-line block ×4, first 2 shown]
	v_fmac_f32_e32 v73, v49, v26
	v_fma_f32 v49, v50, v16, -v68
	v_fmac_f32_e32 v74, v51, v16
	v_fma_f32 v50, v52, v18, -v69
	;; [unrolled: 2-line block ×3, first 2 shown]
	v_fmac_f32_e32 v76, v55, v12
	v_fmac_f32_e32 v82, v39, v28
	v_fma_f32 v39, v56, v30, -v83
	v_add_f32_e32 v46, v37, v36
	v_mul_f32_e32 v52, 0xbeedf032, v38
	v_mul_f32_e32 v53, 0xbf52af12, v38
	;; [unrolled: 1-line block ×6, first 2 shown]
	v_fma_f32 v48, v48, v26, -v67
	v_fmac_f32_e32 v84, v57, v30
	v_fma_f32 v79, v58, v32, -v85
	v_fmac_f32_e32 v86, v59, v32
	v_add_f32_e32 v47, v90, v88
	v_fma_f32 v57, v46, s12, -v52
	v_fmac_f32_e32 v52, 0x3f62ad3f, v46
	v_fma_f32 v58, v46, s13, -v53
	v_fmac_f32_e32 v53, 0x3f116cb1, v46
	;; [unrolled: 2-line block ×6, first 2 shown]
	v_sub_f32_e32 v46, v37, v36
	v_add_f32_e32 v37, v44, v37
	v_add_f32_e32 v90, v45, v90
	;; [unrolled: 1-line block ×10, first 2 shown]
	v_fma_f32 v40, v40, v14, -v71
	v_add_f32_e32 v37, v37, v51
	v_add_f32_e32 v38, v38, v76
	;; [unrolled: 1-line block ×6, first 2 shown]
	v_mul_f32_e32 v68, 0xbeedf032, v46
	v_mul_f32_e32 v70, 0xbf52af12, v46
	v_add_f32_e32 v37, v37, v42
	v_add_f32_e32 v38, v38, v80
	v_mov_b32_e32 v69, v68
	v_mov_b32_e32 v71, v70
	v_fma_f32 v70, v47, s13, -v70
	v_mul_f32_e32 v72, 0xbf7e222b, v46
	v_mul_f32_e32 v83, 0xbf6f5d39, v46
	v_mul_f32_e32 v87, 0xbf29c268, v46
	v_mul_f32_e32 v46, 0xbe750f2a, v46
	v_add_f32_e32 v37, v37, v43
	v_add_f32_e32 v38, v38, v82
	v_fmac_f32_e32 v69, 0x3f62ad3f, v47
	v_mov_b32_e32 v81, v72
	v_fma_f32 v72, v47, s14, -v72
	v_mov_b32_e32 v85, v83
	v_mov_b32_e32 v89, v87
	;; [unrolled: 1-line block ×3, first 2 shown]
	v_add_f32_e32 v100, v45, v70
	v_add_f32_e32 v37, v37, v39
	;; [unrolled: 1-line block ×3, first 2 shown]
	v_sub_f32_e32 v70, v73, v86
	v_fma_f32 v68, v47, s12, -v68
	v_fmac_f32_e32 v71, 0x3f116cb1, v47
	v_fmac_f32_e32 v81, 0x3df6dbef, v47
	v_fmac_f32_e32 v85, 0xbeb58ec6, v47
	v_fma_f32 v83, v47, s15, -v83
	v_fmac_f32_e32 v89, 0xbf3f9e67, v47
	v_fma_f32 v87, v47, s16, -v87
	v_fmac_f32_e32 v91, 0xbf788fa5, v47
	v_fma_f32 v92, v47, s17, -v46
	v_add_f32_e32 v93, v44, v57
	v_add_f32_e32 v94, v45, v69
	v_add_f32_e32 v95, v44, v52
	v_add_f32_e32 v99, v44, v53
	v_add_f32_e32 v101, v44, v59
	v_add_f32_e32 v102, v44, v54
	v_add_f32_e32 v103, v45, v72
	v_add_f32_e32 v53, v44, v61
	v_add_f32_e32 v47, v44, v55
	v_add_f32_e32 v54, v44, v62
	v_add_f32_e32 v69, v44, v56
	v_add_f32_e32 v57, v44, v67
	v_add_f32_e32 v37, v37, v79
	v_add_f32_e32 v38, v38, v86
	v_add_f32_e32 v67, v48, v79
	v_mul_f32_e32 v44, 0xbf52af12, v70
	v_sub_f32_e32 v72, v74, v84
	v_add_f32_e32 v96, v45, v68
	v_add_f32_e32 v98, v45, v71
	;; [unrolled: 1-line block ×11, first 2 shown]
	v_fma_f32 v38, v67, s13, -v44
	v_add_f32_e32 v71, v49, v39
	v_mul_f32_e32 v45, 0xbf7e222b, v72
	v_sub_f32_e32 v79, v48, v79
	v_add_f32_e32 v38, v38, v93
	v_fma_f32 v61, v71, s14, -v45
	v_sub_f32_e32 v85, v75, v82
	v_mul_f32_e32 v48, 0xbf52af12, v79
	v_add_f32_e32 v74, v74, v84
	v_sub_f32_e32 v84, v49, v39
	v_add_f32_e32 v38, v61, v38
	v_add_f32_e32 v83, v50, v43
	v_mul_f32_e32 v61, 0xbf6f5d39, v85
	v_add_f32_e32 v73, v73, v86
	v_mov_b32_e32 v86, v48
	v_mul_f32_e32 v49, 0xbf7e222b, v84
	v_add_f32_e32 v75, v75, v82
	v_sub_f32_e32 v82, v50, v43
	v_fma_f32 v62, v83, s15, -v61
	v_sub_f32_e32 v88, v76, v80
	v_fmac_f32_e32 v86, 0x3f116cb1, v73
	v_mov_b32_e32 v39, v49
	v_mul_f32_e32 v43, 0xbf6f5d39, v82
	v_add_f32_e32 v38, v62, v38
	v_add_f32_e32 v87, v51, v42
	v_mul_f32_e32 v62, 0xbf29c268, v88
	v_add_f32_e32 v86, v86, v94
	v_fmac_f32_e32 v39, 0x3df6dbef, v74
	v_mov_b32_e32 v50, v43
	v_add_f32_e32 v76, v76, v80
	v_sub_f32_e32 v80, v51, v42
	v_fma_f32 v89, v87, s16, -v62
	v_sub_f32_e32 v90, v77, v78
	v_add_f32_e32 v39, v39, v86
	v_fmac_f32_e32 v50, 0xbeb58ec6, v75
	v_mul_f32_e32 v42, 0xbf29c268, v80
	v_add_f32_e32 v77, v77, v78
	v_sub_f32_e32 v78, v40, v41
	v_add_f32_e32 v38, v89, v38
	v_add_f32_e32 v89, v40, v41
	v_add_f32_e32 v39, v50, v39
	v_mov_b32_e32 v50, v42
	v_mul_f32_e32 v40, 0xbe750f2a, v78
	v_fmac_f32_e32 v50, 0xbf3f9e67, v76
	v_mov_b32_e32 v41, v40
	v_add_f32_e32 v39, v50, v39
	v_fmac_f32_e32 v41, 0xbf788fa5, v77
	v_fmac_f32_e32 v44, 0x3f116cb1, v67
	v_add_f32_e32 v39, v41, v39
	v_add_f32_e32 v41, v44, v95
	v_fma_f32 v44, v73, s13, -v48
	v_fmac_f32_e32 v45, 0x3df6dbef, v71
	v_add_f32_e32 v44, v44, v96
	v_add_f32_e32 v41, v45, v41
	v_fma_f32 v45, v74, s14, -v49
	v_add_f32_e32 v44, v45, v44
	v_fma_f32 v43, v75, s15, -v43
	v_fmac_f32_e32 v61, 0xbeb58ec6, v83
	v_add_f32_e32 v43, v43, v44
	v_fma_f32 v42, v76, s16, -v42
	v_mul_f32_e32 v91, 0xbe750f2a, v90
	v_add_f32_e32 v41, v61, v41
	v_fmac_f32_e32 v62, 0xbf3f9e67, v87
	v_add_f32_e32 v42, v42, v43
	v_fma_f32 v40, v77, s17, -v40
	v_fma_f32 v92, v89, s17, -v91
	v_add_f32_e32 v41, v62, v41
	v_fmac_f32_e32 v91, 0xbf788fa5, v89
	v_add_f32_e32 v62, v40, v42
	v_mul_f32_e32 v40, 0xbf6f5d39, v70
	v_add_f32_e32 v61, v91, v41
	v_fma_f32 v41, v67, s15, -v40
	v_mul_f32_e32 v44, 0xbe750f2a, v72
	v_add_f32_e32 v41, v41, v97
	v_mul_f32_e32 v42, 0xbf6f5d39, v79
	v_fma_f32 v45, v71, s17, -v44
	v_mov_b32_e32 v43, v42
	v_add_f32_e32 v41, v45, v41
	v_mul_f32_e32 v45, 0xbe750f2a, v84
	v_fmac_f32_e32 v43, 0xbeb58ec6, v73
	v_mov_b32_e32 v48, v45
	v_add_f32_e32 v43, v43, v98
	v_fmac_f32_e32 v48, 0xbf788fa5, v74
	v_mul_f32_e32 v50, 0x3f29c268, v85
	v_add_f32_e32 v43, v48, v43
	v_fma_f32 v48, v83, s16, -v50
	v_mul_f32_e32 v51, 0x3f29c268, v82
	v_add_f32_e32 v41, v48, v41
	v_mov_b32_e32 v48, v51
	v_fmac_f32_e32 v48, 0xbf3f9e67, v75
	v_mul_f32_e32 v86, 0x3f7e222b, v88
	v_add_f32_e32 v43, v48, v43
	v_fma_f32 v48, v87, s14, -v86
	v_mul_f32_e32 v91, 0x3f7e222b, v80
	v_add_f32_e32 v41, v48, v41
	v_mov_b32_e32 v48, v91
	v_fmac_f32_e32 v48, 0x3df6dbef, v76
	v_mul_f32_e32 v93, 0x3eedf032, v90
	v_add_f32_e32 v43, v48, v43
	v_fma_f32 v48, v89, s12, -v93
	v_fmac_f32_e32 v40, 0xbeb58ec6, v67
	v_add_f32_e32 v48, v48, v41
	v_add_f32_e32 v40, v40, v99
	v_fma_f32 v41, v73, s15, -v42
	v_fmac_f32_e32 v44, 0xbf788fa5, v71
	v_add_f32_e32 v38, v92, v38
	v_mul_f32_e32 v92, 0x3eedf032, v78
	v_add_f32_e32 v41, v41, v100
	v_add_f32_e32 v40, v44, v40
	v_fma_f32 v42, v74, s17, -v45
	v_fmac_f32_e32 v50, 0xbf3f9e67, v83
	v_mov_b32_e32 v49, v92
	v_add_f32_e32 v41, v42, v41
	v_add_f32_e32 v40, v50, v40
	v_fma_f32 v42, v75, s16, -v51
	v_fmac_f32_e32 v86, 0x3df6dbef, v87
	v_fmac_f32_e32 v49, 0x3f62ad3f, v77
	v_add_f32_e32 v41, v42, v41
	v_add_f32_e32 v40, v86, v40
	v_fma_f32 v42, v76, s14, -v91
	v_fmac_f32_e32 v93, 0x3f62ad3f, v89
	v_add_f32_e32 v49, v49, v43
	v_add_f32_e32 v41, v42, v41
	v_fma_f32 v43, v77, s12, -v92
	v_add_f32_e32 v42, v93, v40
	v_mul_f32_e32 v40, 0xbe750f2a, v70
	v_add_f32_e32 v43, v43, v41
	v_fma_f32 v41, v67, s17, -v40
	v_mul_f32_e32 v44, 0x3f6f5d39, v72
	v_add_f32_e32 v41, v41, v101
	v_fma_f32 v45, v71, s15, -v44
	v_add_f32_e32 v41, v45, v41
	v_mul_f32_e32 v45, 0x3eedf032, v85
	v_fma_f32 v50, v83, s12, -v45
	v_mul_f32_e32 v86, 0xbf52af12, v88
	v_add_f32_e32 v41, v50, v41
	v_fma_f32 v50, v87, s13, -v86
	v_mul_f32_e32 v91, 0xbf29c268, v90
	v_add_f32_e32 v41, v50, v41
	v_fma_f32 v50, v89, s16, -v91
	v_add_f32_e32 v50, v50, v41
	v_mul_f32_e32 v41, 0xbe750f2a, v79
	v_mov_b32_e32 v51, v41
	v_fmac_f32_e32 v51, 0xbf788fa5, v73
	v_add_f32_e32 v51, v51, v81
	v_mul_f32_e32 v81, 0x3f6f5d39, v84
	v_mov_b32_e32 v92, v81
	v_fmac_f32_e32 v92, 0xbeb58ec6, v74
	;; [unrolled: 4-line block ×3, first 2 shown]
	v_fmac_f32_e32 v40, 0xbf788fa5, v67
	v_add_f32_e32 v51, v93, v51
	v_mul_f32_e32 v93, 0xbf52af12, v80
	v_add_f32_e32 v40, v40, v102
	v_fmac_f32_e32 v44, 0xbeb58ec6, v71
	v_fma_f32 v41, v73, s17, -v41
	v_mov_b32_e32 v94, v93
	v_add_f32_e32 v40, v44, v40
	v_add_f32_e32 v41, v41, v103
	v_fma_f32 v44, v74, s15, -v81
	v_fmac_f32_e32 v94, 0x3f116cb1, v76
	v_add_f32_e32 v41, v44, v41
	v_fma_f32 v44, v75, s12, -v92
	v_add_f32_e32 v51, v94, v51
	v_mul_f32_e32 v94, 0xbf29c268, v78
	v_add_f32_e32 v41, v44, v41
	v_fma_f32 v44, v76, s13, -v93
	v_add_f32_e32 v41, v44, v41
	v_fma_f32 v44, v77, s16, -v94
	v_fmac_f32_e32 v45, 0x3f62ad3f, v83
	v_add_f32_e32 v41, v44, v41
	v_mul_f32_e32 v44, 0x3f29c268, v70
	v_add_f32_e32 v40, v45, v40
	v_fma_f32 v45, v67, s16, -v44
	v_mul_f32_e32 v81, 0x3f29c268, v79
	v_fmac_f32_e32 v86, 0x3f116cb1, v87
	v_add_f32_e32 v45, v45, v53
	v_mov_b32_e32 v53, v81
	v_add_f32_e32 v40, v86, v40
	v_fmac_f32_e32 v91, 0xbf3f9e67, v89
	v_fmac_f32_e32 v53, 0xbf3f9e67, v73
	v_mul_f32_e32 v86, 0x3eedf032, v72
	v_add_f32_e32 v40, v91, v40
	v_add_f32_e32 v52, v53, v52
	v_fma_f32 v53, v71, s12, -v86
	v_mul_f32_e32 v91, 0x3eedf032, v84
	v_add_f32_e32 v45, v53, v45
	v_mov_b32_e32 v53, v91
	v_fmac_f32_e32 v53, 0x3f62ad3f, v74
	v_mul_f32_e32 v92, 0xbf7e222b, v85
	v_add_f32_e32 v52, v53, v52
	v_fma_f32 v53, v83, s14, -v92
	v_mul_f32_e32 v93, 0xbf7e222b, v82
	v_mov_b32_e32 v95, v94
	v_add_f32_e32 v45, v53, v45
	v_mov_b32_e32 v53, v93
	v_fmac_f32_e32 v95, 0xbf3f9e67, v77
	v_fmac_f32_e32 v53, 0x3df6dbef, v75
	v_mul_f32_e32 v94, 0x3e750f2a, v88
	v_add_f32_e32 v51, v95, v51
	v_add_f32_e32 v52, v53, v52
	v_fma_f32 v53, v87, s17, -v94
	v_mul_f32_e32 v95, 0x3e750f2a, v80
	v_add_f32_e32 v45, v53, v45
	v_mov_b32_e32 v53, v95
	v_fmac_f32_e32 v53, 0xbf788fa5, v76
	v_mul_f32_e32 v98, 0x3f52af12, v90
	v_add_f32_e32 v53, v53, v52
	v_fma_f32 v52, v89, s13, -v98
	v_fmac_f32_e32 v44, 0xbf3f9e67, v67
	v_add_f32_e32 v52, v52, v45
	v_add_f32_e32 v44, v44, v47
	v_fma_f32 v45, v73, s16, -v81
	v_fmac_f32_e32 v86, 0x3f62ad3f, v71
	v_add_f32_e32 v45, v45, v46
	;; [unrolled: 4-line block ×3, first 2 shown]
	v_add_f32_e32 v44, v92, v44
	v_fma_f32 v46, v75, s14, -v93
	v_fmac_f32_e32 v94, 0xbf788fa5, v87
	v_mul_f32_e32 v96, 0x3f52af12, v78
	v_add_f32_e32 v45, v46, v45
	v_add_f32_e32 v44, v94, v44
	v_fma_f32 v46, v76, s17, -v95
	v_fmac_f32_e32 v98, 0x3f116cb1, v89
	v_add_f32_e32 v45, v46, v45
	v_fma_f32 v47, v77, s13, -v96
	v_add_f32_e32 v46, v98, v44
	v_mul_f32_e32 v44, 0x3f7e222b, v70
	v_add_f32_e32 v47, v47, v45
	v_fma_f32 v45, v67, s14, -v44
	v_mul_f32_e32 v81, 0xbf52af12, v72
	v_add_f32_e32 v45, v45, v54
	v_fma_f32 v54, v71, s13, -v81
	;; [unrolled: 3-line block ×5, first 2 shown]
	v_add_f32_e32 v54, v54, v45
	v_mul_f32_e32 v45, 0x3f7e222b, v79
	v_mov_b32_e32 v93, v45
	v_fmac_f32_e32 v93, 0x3df6dbef, v73
	v_add_f32_e32 v55, v93, v55
	v_mul_f32_e32 v93, 0xbf52af12, v84
	v_mov_b32_e32 v94, v93
	v_fmac_f32_e32 v94, 0x3f116cb1, v74
	;; [unrolled: 4-line block ×3, first 2 shown]
	v_add_f32_e32 v55, v95, v55
	v_mul_f32_e32 v95, 0x3eedf032, v80
	v_fma_f32 v45, v73, s14, -v45
	v_mov_b32_e32 v97, v96
	v_mov_b32_e32 v96, v95
	v_add_f32_e32 v45, v45, v68
	v_fma_f32 v68, v74, s13, -v93
	v_fmac_f32_e32 v96, 0x3f62ad3f, v76
	v_add_f32_e32 v45, v68, v45
	v_fma_f32 v68, v75, s17, -v94
	v_add_f32_e32 v55, v96, v55
	v_mul_f32_e32 v96, 0xbf6f5d39, v78
	v_add_f32_e32 v45, v68, v45
	v_fma_f32 v68, v76, s12, -v95
	v_add_f32_e32 v45, v68, v45
	v_fma_f32 v68, v77, s15, -v96
	v_fmac_f32_e32 v44, 0x3df6dbef, v67
	v_add_f32_e32 v45, v68, v45
	v_mul_f32_e32 v68, 0x3eedf032, v70
	v_add_f32_e32 v44, v44, v69
	v_fma_f32 v69, v67, s12, -v68
	v_add_f32_e32 v57, v69, v57
	v_mul_f32_e32 v69, 0x3eedf032, v79
	v_mov_b32_e32 v70, v69
	v_fmac_f32_e32 v70, 0x3f62ad3f, v73
	v_add_f32_e32 v56, v70, v56
	v_mul_f32_e32 v70, 0xbf29c268, v72
	v_fma_f32 v72, v71, s16, -v70
	v_add_f32_e32 v57, v72, v57
	v_mul_f32_e32 v72, 0xbf29c268, v84
	v_mov_b32_e32 v79, v72
	v_fmac_f32_e32 v79, 0xbf3f9e67, v74
	v_fmac_f32_e32 v81, 0x3f116cb1, v71
	v_add_f32_e32 v56, v79, v56
	v_mul_f32_e32 v79, 0x3f52af12, v85
	v_add_f32_e32 v44, v81, v44
	v_fma_f32 v81, v83, s13, -v79
	v_add_f32_e32 v57, v81, v57
	v_mul_f32_e32 v81, 0x3f52af12, v82
	v_mov_b32_e32 v82, v81
	v_fmac_f32_e32 v82, 0x3f116cb1, v75
	v_add_f32_e32 v56, v82, v56
	v_mul_f32_e32 v82, 0xbf6f5d39, v88
	v_fmac_f32_e32 v68, 0x3f62ad3f, v67
	v_fma_f32 v67, v73, s12, -v69
	v_fma_f32 v84, v87, s15, -v82
	v_mul_f32_e32 v80, 0xbf6f5d39, v80
	v_add_f32_e32 v58, v68, v58
	v_fmac_f32_e32 v70, 0xbf3f9e67, v71
	v_add_f32_e32 v59, v67, v59
	v_fma_f32 v67, v74, s16, -v72
	v_fmac_f32_e32 v97, 0x3f116cb1, v77
	v_fmac_f32_e32 v86, 0xbf788fa5, v83
	v_add_f32_e32 v57, v84, v57
	v_mov_b32_e32 v84, v80
	v_mul_f32_e32 v78, 0x3f7e222b, v78
	v_add_f32_e32 v58, v70, v58
	v_fmac_f32_e32 v79, 0x3f116cb1, v83
	v_add_f32_e32 v59, v67, v59
	v_fma_f32 v67, v75, s13, -v81
	v_add_f32_e32 v53, v97, v53
	v_mov_b32_e32 v97, v96
	v_add_f32_e32 v44, v86, v44
	v_fmac_f32_e32 v91, 0x3f62ad3f, v87
	v_fmac_f32_e32 v84, 0xbeb58ec6, v76
	v_mul_f32_e32 v85, 0x3f7e222b, v90
	v_mov_b32_e32 v86, v78
	v_add_f32_e32 v58, v79, v58
	v_fmac_f32_e32 v82, 0xbeb58ec6, v87
	v_add_f32_e32 v59, v67, v59
	v_fma_f32 v67, v76, s15, -v80
	v_fmac_f32_e32 v97, 0xbeb58ec6, v77
	v_add_f32_e32 v44, v91, v44
	v_fmac_f32_e32 v92, 0xbeb58ec6, v89
	v_add_f32_e32 v84, v84, v56
	v_fmac_f32_e32 v86, 0x3df6dbef, v77
	v_fma_f32 v56, v89, s14, -v85
	v_add_f32_e32 v58, v82, v58
	v_fmac_f32_e32 v85, 0x3df6dbef, v89
	v_add_f32_e32 v59, v67, v59
	v_fma_f32 v67, v77, s14, -v78
	v_add_f32_e32 v55, v97, v55
	v_add_f32_e32 v44, v92, v44
	v_add_f32_e32 v56, v56, v57
	v_add_f32_e32 v57, v86, v84
	v_add_f32_e32 v58, v85, v58
	v_add_f32_e32 v59, v67, v59
	s_and_saveexec_b64 s[12:13], s[2:3]
	s_cbranch_execz .LBB0_11
; %bb.10:
	v_add_u32_e32 v67, 0x400, v63
	ds_write2_b64 v63, v[36:37], v[38:39] offset1:63
	ds_write2_b64 v63, v[48:49], v[50:51] offset0:126 offset1:189
	ds_write2_b64 v67, v[52:53], v[54:55] offset0:124 offset1:187
	v_add_u32_e32 v67, 0x800, v63
	ds_write2_b64 v67, v[56:57], v[58:59] offset0:122 offset1:185
	v_add_u32_e32 v67, 0xc00, v63
	;; [unrolled: 2-line block ×3, first 2 shown]
	ds_write2_b64 v67, v[40:41], v[42:43] offset0:118 offset1:181
	ds_write_b64 v63, v[61:62] offset:6048
.LBB0_11:
	s_or_b64 exec, exec, s[12:13]
	s_waitcnt lgkmcnt(0)
	s_barrier
	s_and_saveexec_b64 s[12:13], s[0:1]
	s_cbranch_execz .LBB0_13
; %bb.12:
	v_mov_b32_e32 v67, s11
	v_add_co_u32_e32 v73, vcc, s10, v63
	v_addc_co_u32_e32 v74, vcc, 0, v67, vcc
	v_add_co_u32_e32 v67, vcc, 0x1998, v73
	v_addc_co_u32_e32 v68, vcc, 0, v74, vcc
	;; [unrolled: 2-line block ×3, first 2 shown]
	global_load_dwordx2 v[71:72], v[69:70], off offset:2456
	global_load_dwordx2 v[83:84], v[67:68], off offset:728
	;; [unrolled: 1-line block ×5, first 2 shown]
	s_movk_i32 s14, 0x2000
	v_add_co_u32_e32 v69, vcc, s14, v73
	v_addc_co_u32_e32 v70, vcc, 0, v74, vcc
	global_load_dwordx2 v[91:92], v[69:70], off offset:2728
	global_load_dwordx2 v[93:94], v[69:70], off offset:3456
	;; [unrolled: 1-line block ×3, first 2 shown]
	v_add_co_u32_e32 v67, vcc, 0x3000, v73
	v_addc_co_u32_e32 v68, vcc, 0, v74, vcc
	global_load_dwordx2 v[97:98], v[67:68], off offset:88
	ds_read_b64 v[67:68], v63
	v_add_u32_e32 v100, 0x800, v63
	v_add_u32_e32 v101, 0xc00, v63
	;; [unrolled: 1-line block ×3, first 2 shown]
	s_waitcnt vmcnt(8) lgkmcnt(0)
	v_mul_f32_e32 v69, v68, v72
	v_mul_f32_e32 v70, v67, v72
	v_fma_f32 v69, v67, v71, -v69
	v_fmac_f32_e32 v70, v68, v71
	ds_write_b64 v63, v[69:70]
	ds_read2_b64 v[67:70], v63 offset0:91 offset1:182
	ds_read2_b64 v[71:74], v100 offset0:17 offset1:108
	ds_read2_b64 v[75:78], v101 offset0:71 offset1:162
	ds_read2_b64 v[79:82], v102 offset0:125 offset1:216
	s_waitcnt vmcnt(5) lgkmcnt(2)
	v_mul_f32_e32 v105, v72, v88
	v_mul_f32_e32 v103, v68, v84
	v_mul_f32_e32 v99, v67, v84
	v_mul_f32_e32 v104, v70, v86
	v_mul_f32_e32 v84, v69, v86
	v_mul_f32_e32 v86, v71, v88
	s_waitcnt vmcnt(4)
	v_mul_f32_e32 v106, v74, v90
	v_mul_f32_e32 v88, v73, v90
	s_waitcnt vmcnt(1) lgkmcnt(1)
	v_mul_f32_e32 v107, v76, v96
	v_mul_f32_e32 v90, v75, v96
	;; [unrolled: 1-line block ×4, first 2 shown]
	s_waitcnt lgkmcnt(0)
	v_mul_f32_e32 v109, v80, v94
	v_mul_f32_e32 v92, v79, v94
	s_waitcnt vmcnt(0)
	v_mul_f32_e32 v110, v82, v98
	v_mul_f32_e32 v94, v81, v98
	v_fma_f32 v98, v67, v83, -v103
	v_fmac_f32_e32 v99, v68, v83
	v_fma_f32 v83, v69, v85, -v104
	v_fmac_f32_e32 v84, v70, v85
	;; [unrolled: 2-line block ×8, first 2 shown]
	ds_write2_b64 v63, v[98:99], v[83:84] offset0:91 offset1:182
	ds_write2_b64 v100, v[85:86], v[87:88] offset0:17 offset1:108
	;; [unrolled: 1-line block ×4, first 2 shown]
.LBB0_13:
	s_or_b64 exec, exec, s[12:13]
	s_waitcnt lgkmcnt(0)
	s_barrier
	s_and_saveexec_b64 s[12:13], s[0:1]
	s_cbranch_execz .LBB0_15
; %bb.14:
	v_add_u32_e32 v44, 0x400, v63
	ds_read2_b64 v[48:51], v44 offset0:54 offset1:145
	v_add_u32_e32 v44, 0x800, v63
	ds_read2_b64 v[52:55], v44 offset0:108 offset1:199
	v_add_u32_e32 v44, 0x1000, v63
	ds_read2_b64 v[36:39], v63 offset1:91
	ds_read2_b64 v[56:59], v44 offset0:34 offset1:125
	ds_read_b64 v[44:45], v63 offset:5824
.LBB0_15:
	s_or_b64 exec, exec, s[12:13]
	s_waitcnt lgkmcnt(0)
	v_add_f32_e32 v70, v44, v38
	v_add_f32_e32 v74, v45, v39
	v_sub_f32_e32 v71, v38, v44
	v_sub_f32_e32 v68, v39, v45
	v_mov_b32_e32 v44, v36
	v_mov_b32_e32 v45, v37
	v_add_f32_e32 v72, v58, v48
	v_add_f32_e32 v75, v59, v49
	v_sub_f32_e32 v73, v48, v58
	v_sub_f32_e32 v58, v49, v59
	v_mul_f32_e32 v38, 0x3f248dbb, v71
	v_mul_f32_e32 v39, 0x3f248dbb, v68
	v_fmac_f32_e32 v44, 0x3f441b7d, v70
	v_fmac_f32_e32 v45, 0x3f441b7d, v74
	v_add_f32_e32 v67, v56, v50
	v_add_f32_e32 v69, v57, v51
	v_sub_f32_e32 v77, v50, v56
	v_sub_f32_e32 v78, v51, v57
	v_fmac_f32_e32 v38, 0x3f7c1c5c, v73
	v_fmac_f32_e32 v39, 0x3f7c1c5c, v58
	;; [unrolled: 1-line block ×6, first 2 shown]
	v_sub_f32_e32 v57, v52, v54
	v_sub_f32_e32 v56, v53, v55
	v_fmac_f32_e32 v44, -0.5, v67
	v_fmac_f32_e32 v45, -0.5, v69
	v_add_f32_e32 v59, v54, v52
	v_add_f32_e32 v76, v55, v53
	v_fmac_f32_e32 v38, 0x3eaf1d44, v57
	v_fmac_f32_e32 v39, 0x3eaf1d44, v56
	;; [unrolled: 1-line block ×4, first 2 shown]
	v_sub_f32_e32 v48, v44, v39
	v_add_f32_e32 v49, v38, v45
	s_mov_b32 s12, 0x3f7c1c5c
	v_fma_f32 v44, 2.0, v39, v48
	v_fma_f32 v45, -2.0, v38, v49
	v_mul_f32_e32 v38, 0x3f248dbb, v57
	v_mul_f32_e32 v39, 0x3f248dbb, v56
	v_fma_f32 v79, v71, s12, -v38
	v_fma_f32 v38, v68, s12, -v39
	v_mov_b32_e32 v39, v36
	v_mov_b32_e32 v51, v37
	v_fmac_f32_e32 v39, 0x3f441b7d, v59
	v_fmac_f32_e32 v51, 0x3f441b7d, v76
	;; [unrolled: 1-line block ×6, first 2 shown]
	v_fmac_f32_e32 v39, -0.5, v67
	v_fmac_f32_e32 v51, -0.5, v69
	v_fmac_f32_e32 v79, 0x3eaf1d44, v73
	v_fmac_f32_e32 v38, 0x3eaf1d44, v58
	;; [unrolled: 1-line block ×4, first 2 shown]
	v_sub_f32_e32 v50, v39, v38
	v_add_f32_e32 v51, v79, v51
	v_fma_f32 v38, 2.0, v38, v50
	v_fma_f32 v39, -2.0, v79, v51
	s_barrier
	s_and_saveexec_b64 s[12:13], s[0:1]
	s_cbranch_execz .LBB0_17
; %bb.16:
	v_mul_f32_e32 v80, 0x3f7c1c5c, v57
	s_mov_b32 s14, 0xbf248dbb
	v_mul_f32_e32 v77, 0x3f5db3d7, v77
	v_fma_f32 v80, v73, s14, -v80
	v_add_f32_e32 v77, v77, v80
	v_mov_b32_e32 v80, v37
	v_fmac_f32_e32 v80, 0x3f441b7d, v75
	v_mul_f32_e32 v79, 0x3f5db3d7, v78
	v_mul_f32_e32 v78, 0.5, v69
	v_fmac_f32_e32 v80, 0x3e31d0d4, v76
	v_sub_f32_e32 v78, v80, v78
	v_fmac_f32_e32 v77, 0x3eaf1d44, v71
	v_fmac_f32_e32 v78, 0xbf708fb2, v74
	v_add_f32_e32 v78, v77, v78
	v_fma_f32 v80, -2.0, v77, v78
	v_mul_f32_e32 v77, 0x3f7c1c5c, v56
	v_fma_f32 v77, v58, s14, -v77
	v_add_f32_e32 v79, v79, v77
	v_mov_b32_e32 v77, v36
	v_add_f32_e32 v74, v75, v74
	v_fmac_f32_e32 v77, 0x3f441b7d, v72
	v_add_f32_e32 v75, v69, v74
	v_mul_f32_e32 v81, 0.5, v67
	v_fmac_f32_e32 v77, 0x3e31d0d4, v59
	v_add_f32_e32 v53, v53, v75
	v_sub_f32_e32 v77, v77, v81
	v_add_f32_e32 v53, v55, v53
	v_add_f32_e32 v55, v72, v70
	v_fmac_f32_e32 v77, 0xbf708fb2, v70
	v_add_f32_e32 v70, v67, v55
	v_add_f32_e32 v52, v52, v70
	v_add_f32_e32 v52, v54, v52
	v_add_f32_e32 v53, v37, v53
	v_add_f32_e32 v52, v36, v52
	v_add_f32_e32 v54, v57, v71
	v_add_f32_e32 v37, v69, v37
	v_add_f32_e32 v69, v76, v74
	v_add_f32_e32 v56, v56, v68
	v_add_f32_e32 v36, v67, v36
	v_add_f32_e32 v55, v59, v55
	v_sub_f32_e32 v54, v54, v73
	v_fmac_f32_e32 v37, -0.5, v69
	v_sub_f32_e32 v56, v56, v58
	v_fmac_f32_e32 v36, -0.5, v55
	v_fmac_f32_e32 v79, 0x3eaf1d44, v68
	v_mul_f32_e32 v57, 0x3f5db3d7, v54
	v_fmac_f32_e32 v37, 0x3f5db3d7, v54
	v_fmac_f32_e32 v36, 0xbf5db3d7, v56
	v_lshlrev_b32_e32 v55, 3, v65
	v_sub_f32_e32 v77, v77, v79
	v_fma_f32 v54, -2.0, v57, v37
	v_mul_f32_e32 v57, 0x3f5db3d7, v56
	ds_write2_b64 v55, v[52:53], v[48:49] offset1:1
	v_mov_b32_e32 v53, v36
	v_fma_f32 v79, 2.0, v79, v77
	v_fmac_f32_e32 v53, 2.0, v57
	ds_write2_b64 v55, v[50:51], v[36:37] offset0:2 offset1:3
	ds_write2_b64 v55, v[77:78], v[79:80] offset0:4 offset1:5
	;; [unrolled: 1-line block ×3, first 2 shown]
	ds_write_b64 v55, v[44:45] offset:64
.LBB0_17:
	s_or_b64 exec, exec, s[12:13]
	s_waitcnt lgkmcnt(0)
	s_barrier
	ds_read2_b64 v[50:53], v63 offset1:117
	v_add_u32_e32 v49, 0x400, v63
	ds_read2_b64 v[54:57], v49 offset0:106 offset1:223
	v_add_u32_e32 v48, 0xc00, v63
	ds_read2_b64 v[67:70], v48 offset0:84 offset1:201
	ds_read_b64 v[36:37], v63 offset:5616
	s_waitcnt lgkmcnt(3)
	v_mul_f32_e32 v58, v9, v53
	v_mul_f32_e32 v9, v9, v52
	v_fmac_f32_e32 v58, v8, v52
	v_fma_f32 v8, v8, v53, -v9
	s_waitcnt lgkmcnt(2)
	v_mul_f32_e32 v9, v11, v55
	v_mul_f32_e32 v11, v11, v54
	v_fmac_f32_e32 v9, v10, v54
	v_fma_f32 v10, v10, v55, -v11
	v_mul_f32_e32 v11, v5, v57
	v_mul_f32_e32 v5, v5, v56
	v_fmac_f32_e32 v11, v4, v56
	v_fma_f32 v4, v4, v57, -v5
	s_waitcnt lgkmcnt(1)
	v_mul_f32_e32 v5, v7, v68
	v_mul_f32_e32 v7, v7, v67
	v_fmac_f32_e32 v5, v6, v67
	v_fma_f32 v6, v6, v68, -v7
	;; [unrolled: 9-line block ×3, first 2 shown]
	v_add_f32_e32 v3, v58, v1
	v_add_f32_e32 v36, v8, v2
	v_sub_f32_e32 v2, v8, v2
	v_add_f32_e32 v8, v9, v7
	v_add_f32_e32 v37, v10, v0
	v_sub_f32_e32 v7, v9, v7
	v_sub_f32_e32 v0, v10, v0
	v_add_f32_e32 v9, v11, v5
	v_add_f32_e32 v10, v4, v6
	v_sub_f32_e32 v4, v6, v4
	v_add_f32_e32 v6, v8, v3
	v_sub_f32_e32 v5, v5, v11
	v_add_f32_e32 v11, v37, v36
	v_add_f32_e32 v6, v9, v6
	v_sub_f32_e32 v1, v58, v1
	v_sub_f32_e32 v52, v8, v3
	;; [unrolled: 1-line block ×4, first 2 shown]
	v_add_f32_e32 v54, v5, v7
	v_add_f32_e32 v55, v4, v0
	v_sub_f32_e32 v57, v4, v0
	v_sub_f32_e32 v58, v0, v2
	v_add_f32_e32 v9, v10, v11
	v_add_f32_e32 v0, v50, v6
	v_sub_f32_e32 v53, v37, v36
	v_sub_f32_e32 v36, v36, v10
	v_sub_f32_e32 v37, v10, v37
	v_sub_f32_e32 v56, v5, v7
	v_sub_f32_e32 v5, v1, v5
	v_sub_f32_e32 v7, v7, v1
	v_add_f32_e32 v10, v54, v1
	v_add_f32_e32 v1, v51, v9
	v_mul_f32_e32 v54, 0x3f08b237, v57
	v_mov_b32_e32 v57, v0
	v_mul_f32_e32 v11, 0x3f4a47b2, v36
	v_mul_f32_e32 v36, 0x3d64c772, v8
	;; [unrolled: 1-line block ×3, first 2 shown]
	v_fmac_f32_e32 v57, 0xbf955555, v6
	v_mov_b32_e32 v6, v1
	s_mov_b32 s13, 0x3f3bfb3b
	v_mul_f32_e32 v3, 0x3f4a47b2, v3
	v_mul_f32_e32 v51, 0x3f08b237, v56
	s_mov_b32 s12, 0xbf5ff5aa
	v_fmac_f32_e32 v6, 0xbf955555, v9
	v_fma_f32 v9, v52, s13, -v36
	v_fma_f32 v36, v53, s13, -v50
	s_mov_b32 s13, 0xbf3bfb3b
	v_sub_f32_e32 v4, v2, v4
	v_add_f32_e32 v2, v55, v2
	v_mul_f32_e32 v55, 0xbf5ff5aa, v7
	v_mul_f32_e32 v56, 0xbf5ff5aa, v58
	v_fma_f32 v50, v52, s13, -v3
	v_fmac_f32_e32 v3, 0x3d64c772, v8
	v_fma_f32 v8, v53, s13, -v11
	v_fmac_f32_e32 v11, 0x3d64c772, v37
	v_fma_f32 v7, v7, s12, -v51
	v_fma_f32 v37, v58, s12, -v54
	s_mov_b32 s12, 0x3eae86e6
	v_fmac_f32_e32 v51, 0xbeae86e6, v5
	v_fmac_f32_e32 v54, 0xbeae86e6, v4
	v_fma_f32 v52, v5, s12, -v55
	v_fma_f32 v53, v4, s12, -v56
	v_add_f32_e32 v55, v3, v57
	v_add_f32_e32 v56, v11, v6
	;; [unrolled: 1-line block ×6, first 2 shown]
	v_fmac_f32_e32 v51, 0xbee1c552, v10
	v_fmac_f32_e32 v54, 0xbee1c552, v2
	v_fmac_f32_e32 v7, 0xbee1c552, v10
	v_fmac_f32_e32 v37, 0xbee1c552, v2
	v_fmac_f32_e32 v52, 0xbee1c552, v10
	v_fmac_f32_e32 v53, 0xbee1c552, v2
	v_add_f32_e32 v2, v54, v55
	v_sub_f32_e32 v3, v56, v51
	v_add_f32_e32 v8, v53, v36
	v_sub_f32_e32 v9, v50, v52
	v_sub_f32_e32 v10, v4, v37
	v_add_f32_e32 v11, v7, v5
	v_add_f32_e32 v4, v37, v4
	v_sub_f32_e32 v5, v5, v7
	v_sub_f32_e32 v6, v36, v53
	v_add_f32_e32 v7, v52, v50
	v_sub_f32_e32 v36, v55, v54
	v_add_f32_e32 v37, v51, v56
	s_barrier
	ds_write2_b64 v66, v[0:1], v[2:3] offset1:9
	ds_write2_b64 v66, v[8:9], v[10:11] offset0:18 offset1:27
	ds_write2_b64 v66, v[4:5], v[6:7] offset0:36 offset1:45
	ds_write_b64 v66, v[36:37] offset:432
	s_waitcnt lgkmcnt(0)
	s_barrier
	s_and_saveexec_b64 s[12:13], s[2:3]
	s_cbranch_execz .LBB0_19
; %bb.18:
	ds_read2_b64 v[0:3], v63 offset1:63
	ds_read2_b64 v[8:11], v63 offset0:126 offset1:189
	ds_read2_b64 v[4:7], v49 offset0:124 offset1:187
	v_add_u32_e32 v36, 0x800, v63
	v_add_u32_e32 v40, 0x1000, v63
	ds_read2_b64 v[36:39], v36 offset0:122 offset1:185
	ds_read2_b64 v[44:47], v48 offset0:120 offset1:183
	;; [unrolled: 1-line block ×3, first 2 shown]
	ds_read_b64 v[61:62], v63 offset:6048
.LBB0_19:
	s_or_b64 exec, exec, s[12:13]
	s_and_saveexec_b64 s[12:13], s[2:3]
	s_cbranch_execz .LBB0_21
; %bb.20:
	s_waitcnt lgkmcnt(6)
	v_mul_f32_e32 v49, v25, v2
	s_waitcnt lgkmcnt(0)
	v_mul_f32_e32 v48, v35, v61
	v_fma_f32 v49, v24, v3, -v49
	v_mul_f32_e32 v25, v25, v3
	v_mul_f32_e32 v35, v35, v62
	;; [unrolled: 1-line block ×3, first 2 shown]
	v_fma_f32 v48, v34, v62, -v48
	v_fmac_f32_e32 v35, v34, v61
	v_fma_f32 v34, v32, v43, -v3
	v_mul_f32_e32 v3, v27, v8
	v_add_f32_e32 v50, v48, v49
	v_fma_f32 v52, v26, v9, -v3
	v_mul_f32_e32 v27, v27, v9
	v_mul_f32_e32 v51, 0xbf788fa5, v50
	v_fmac_f32_e32 v25, v24, v2
	v_add_f32_e32 v53, v34, v52
	v_fmac_f32_e32 v27, v26, v8
	v_mul_f32_e32 v26, v33, v43
	v_sub_f32_e32 v24, v25, v35
	v_mov_b32_e32 v2, v51
	v_mul_f32_e32 v54, 0x3f62ad3f, v53
	v_fmac_f32_e32 v26, v32, v42
	v_fmac_f32_e32 v2, 0x3e750f2a, v24
	v_sub_f32_e32 v8, v27, v26
	v_mov_b32_e32 v3, v54
	v_add_f32_e32 v2, v1, v2
	v_fmac_f32_e32 v3, 0xbeedf032, v8
	v_add_f32_e32 v2, v3, v2
	v_mul_f32_e32 v3, v31, v40
	v_fma_f32 v32, v30, v41, -v3
	v_mul_f32_e32 v3, v17, v10
	v_fma_f32 v33, v16, v11, -v3
	v_mul_f32_e32 v55, v17, v11
	v_add_f32_e32 v42, v32, v33
	v_fmac_f32_e32 v55, v16, v10
	v_mul_f32_e32 v16, v31, v41
	v_mul_f32_e32 v43, 0xbf3f9e67, v42
	v_fmac_f32_e32 v16, v30, v40
	v_sub_f32_e32 v9, v55, v16
	v_mov_b32_e32 v3, v43
	v_fmac_f32_e32 v3, 0x3f29c268, v9
	v_add_f32_e32 v2, v3, v2
	v_mul_f32_e32 v3, v29, v46
	v_fma_f32 v17, v28, v47, -v3
	v_mul_f32_e32 v3, v19, v4
	v_fma_f32 v30, v18, v5, -v3
	v_mul_f32_e32 v19, v19, v5
	v_add_f32_e32 v31, v17, v30
	v_fmac_f32_e32 v19, v18, v4
	v_mul_f32_e32 v18, v29, v47
	v_mul_f32_e32 v40, 0x3f116cb1, v31
	v_fmac_f32_e32 v18, v28, v46
	v_sub_f32_e32 v29, v19, v18
	v_mov_b32_e32 v3, v40
	v_fmac_f32_e32 v3, 0xbf52af12, v29
	v_add_f32_e32 v2, v3, v2
	v_mul_f32_e32 v3, v23, v44
	v_fma_f32 v28, v22, v45, -v3
	v_mul_f32_e32 v3, v13, v6
	v_fma_f32 v41, v12, v7, -v3
	v_add_f32_e32 v46, v28, v41
	v_mul_f32_e32 v56, v13, v7
	v_mul_f32_e32 v23, v23, v45
	v_mul_f32_e32 v47, 0xbeb58ec6, v46
	v_fmac_f32_e32 v56, v12, v6
	v_fmac_f32_e32 v23, v22, v44
	v_sub_f32_e32 v44, v56, v23
	v_mov_b32_e32 v3, v47
	v_fmac_f32_e32 v3, 0x3f6f5d39, v44
	v_add_f32_e32 v2, v3, v2
	v_mul_f32_e32 v3, v21, v38
	v_fma_f32 v22, v20, v39, -v3
	v_mul_f32_e32 v3, v15, v36
	v_fma_f32 v45, v14, v37, -v3
	v_add_f32_e32 v57, v22, v45
	v_mul_f32_e32 v37, v15, v37
	v_mul_f32_e32 v21, v21, v39
	;; [unrolled: 1-line block ×3, first 2 shown]
	v_fmac_f32_e32 v37, v14, v36
	v_fmac_f32_e32 v21, v20, v38
	v_sub_f32_e32 v36, v37, v21
	v_mov_b32_e32 v3, v58
	v_sub_f32_e32 v14, v49, v48
	v_fmac_f32_e32 v3, 0xbf7e222b, v36
	v_mul_f32_e32 v20, 0xbe750f2a, v14
	v_sub_f32_e32 v15, v52, v34
	v_add_f32_e32 v3, v3, v2
	v_add_f32_e32 v38, v35, v25
	v_mov_b32_e32 v2, v20
	v_mul_f32_e32 v59, 0x3eedf032, v15
	v_fmac_f32_e32 v2, 0xbf788fa5, v38
	v_add_f32_e32 v39, v26, v27
	v_mov_b32_e32 v4, v59
	v_sub_f32_e32 v62, v33, v32
	v_add_f32_e32 v2, v0, v2
	v_fmac_f32_e32 v4, 0x3f62ad3f, v39
	v_mul_f32_e32 v65, 0xbf29c268, v62
	v_add_f32_e32 v2, v4, v2
	v_add_f32_e32 v61, v16, v55
	v_mov_b32_e32 v4, v65
	v_sub_f32_e32 v67, v30, v17
	v_fmac_f32_e32 v4, 0xbf3f9e67, v61
	v_mul_f32_e32 v68, 0x3f52af12, v67
	v_add_f32_e32 v2, v4, v2
	v_add_f32_e32 v66, v18, v19
	v_mov_b32_e32 v4, v68
	v_sub_f32_e32 v70, v41, v28
	v_fmac_f32_e32 v4, 0x3f116cb1, v66
	v_mul_f32_e32 v71, 0xbf6f5d39, v70
	v_add_f32_e32 v2, v4, v2
	v_add_f32_e32 v69, v23, v56
	v_mov_b32_e32 v4, v71
	v_sub_f32_e32 v73, v45, v22
	v_fmac_f32_e32 v4, 0xbeb58ec6, v69
	v_mul_f32_e32 v74, 0x3f7e222b, v73
	v_add_f32_e32 v2, v4, v2
	v_add_f32_e32 v72, v21, v37
	v_mov_b32_e32 v4, v74
	v_fmac_f32_e32 v4, 0x3df6dbef, v72
	v_mul_f32_e32 v75, 0xbf3f9e67, v50
	v_add_f32_e32 v2, v4, v2
	v_mov_b32_e32 v4, v75
	v_mul_f32_e32 v76, 0x3df6dbef, v53
	v_fmac_f32_e32 v4, 0x3f29c268, v24
	v_mov_b32_e32 v5, v76
	v_add_f32_e32 v4, v1, v4
	v_fmac_f32_e32 v5, 0xbf7e222b, v8
	v_mul_f32_e32 v77, 0x3f116cb1, v42
	v_add_f32_e32 v4, v5, v4
	v_mov_b32_e32 v5, v77
	v_fmac_f32_e32 v5, 0x3f52af12, v9
	v_mul_f32_e32 v78, 0xbf788fa5, v31
	v_add_f32_e32 v4, v5, v4
	v_mov_b32_e32 v5, v78
	v_fmac_f32_e32 v5, 0xbe750f2a, v29
	v_mul_f32_e32 v79, 0x3f62ad3f, v46
	v_add_f32_e32 v4, v5, v4
	v_mov_b32_e32 v5, v79
	v_fmac_f32_e32 v5, 0xbeedf032, v44
	v_mul_f32_e32 v80, 0xbeb58ec6, v57
	v_add_f32_e32 v4, v5, v4
	v_mov_b32_e32 v5, v80
	v_fmac_f32_e32 v5, 0x3f6f5d39, v36
	v_mul_f32_e32 v81, 0xbf29c268, v14
	v_add_f32_e32 v5, v5, v4
	v_mov_b32_e32 v4, v81
	v_mul_f32_e32 v82, 0x3f7e222b, v15
	v_fmac_f32_e32 v4, 0xbf3f9e67, v38
	v_mov_b32_e32 v6, v82
	v_add_f32_e32 v4, v0, v4
	v_fmac_f32_e32 v6, 0x3df6dbef, v39
	v_mul_f32_e32 v83, 0xbf52af12, v62
	v_add_f32_e32 v4, v6, v4
	v_mov_b32_e32 v6, v83
	v_fmac_f32_e32 v6, 0x3f116cb1, v61
	v_mul_f32_e32 v84, 0x3e750f2a, v67
	v_add_f32_e32 v4, v6, v4
	v_mov_b32_e32 v6, v84
	v_fmac_f32_e32 v6, 0xbf788fa5, v66
	v_mul_f32_e32 v85, 0x3eedf032, v70
	v_add_f32_e32 v4, v6, v4
	v_mov_b32_e32 v6, v85
	v_fmac_f32_e32 v6, 0x3f62ad3f, v69
	v_mul_f32_e32 v86, 0xbf6f5d39, v73
	;; [unrolled: 24-line block ×4, first 2 shown]
	v_add_f32_e32 v6, v10, v6
	v_mov_b32_e32 v10, v98
	v_fmac_f32_e32 v10, 0x3f116cb1, v72
	v_mul_f32_e32 v99, 0x3df6dbef, v50
	v_add_f32_e32 v49, v49, v1
	v_add_f32_e32 v6, v10, v6
	v_mov_b32_e32 v10, v99
	v_mul_f32_e32 v100, 0xbf788fa5, v53
	v_add_f32_e32 v49, v52, v49
	v_fmac_f32_e32 v10, 0x3f7e222b, v24
	v_mov_b32_e32 v11, v100
	v_add_f32_e32 v33, v33, v49
	v_add_f32_e32 v10, v1, v10
	v_fmac_f32_e32 v11, 0x3e750f2a, v8
	v_mul_f32_e32 v101, 0xbeb58ec6, v42
	v_add_f32_e32 v30, v30, v33
	v_add_f32_e32 v10, v11, v10
	v_mov_b32_e32 v11, v101
	v_add_f32_e32 v30, v41, v30
	v_fmac_f32_e32 v11, 0xbf6f5d39, v9
	v_mul_f32_e32 v102, 0x3f62ad3f, v31
	v_add_f32_e32 v30, v45, v30
	v_add_f32_e32 v10, v11, v10
	v_mov_b32_e32 v11, v102
	;; [unrolled: 6-line block ×3, first 2 shown]
	v_add_f32_e32 v17, v17, v22
	v_add_f32_e32 v22, v0, v25
	v_fmac_f32_e32 v11, 0x3f52af12, v44
	v_mul_f32_e32 v104, 0xbf3f9e67, v57
	v_add_f32_e32 v22, v27, v22
	v_add_f32_e32 v10, v11, v10
	v_mov_b32_e32 v11, v104
	v_add_f32_e32 v22, v55, v22
	v_fmac_f32_e32 v11, 0x3f29c268, v36
	v_mul_f32_e32 v105, 0xbf7e222b, v14
	v_add_f32_e32 v19, v19, v22
	v_add_f32_e32 v11, v11, v10
	v_mov_b32_e32 v10, v105
	v_mul_f32_e32 v106, 0xbe750f2a, v15
	v_add_f32_e32 v19, v56, v19
	v_fmac_f32_e32 v10, 0x3df6dbef, v38
	v_mov_b32_e32 v12, v106
	v_add_f32_e32 v19, v37, v19
	v_add_f32_e32 v10, v0, v10
	v_fmac_f32_e32 v12, 0xbf788fa5, v39
	v_mul_f32_e32 v107, 0x3f6f5d39, v62
	v_add_f32_e32 v19, v21, v19
	v_add_f32_e32 v10, v12, v10
	v_mov_b32_e32 v12, v107
	v_add_f32_e32 v19, v23, v19
	v_fmac_f32_e32 v12, 0xbeb58ec6, v61
	v_mul_f32_e32 v108, 0x3eedf032, v67
	v_add_f32_e32 v18, v18, v19
	v_fmac_f32_e32 v51, 0xbe750f2a, v24
	v_add_f32_e32 v10, v12, v10
	v_mov_b32_e32 v12, v108
	v_add_f32_e32 v16, v16, v18
	v_add_f32_e32 v18, v1, v51
	v_fmac_f32_e32 v54, 0x3eedf032, v8
	v_fmac_f32_e32 v12, 0x3f62ad3f, v66
	v_mul_f32_e32 v109, 0xbf52af12, v70
	v_add_f32_e32 v18, v54, v18
	v_fmac_f32_e32 v43, 0xbf29c268, v9
	v_add_f32_e32 v10, v12, v10
	v_mov_b32_e32 v12, v109
	v_add_f32_e32 v18, v43, v18
	v_fmac_f32_e32 v40, 0x3f52af12, v29
	v_fmac_f32_e32 v12, 0x3f116cb1, v69
	v_mul_f32_e32 v110, 0xbf29c268, v73
	v_add_f32_e32 v18, v40, v18
	v_fmac_f32_e32 v47, 0xbf6f5d39, v44
	v_add_f32_e32 v10, v12, v10
	v_mov_b32_e32 v12, v110
	s_mov_b32 s2, 0xbf788fa5
	v_add_f32_e32 v18, v47, v18
	v_fmac_f32_e32 v58, 0x3f7e222b, v36
	v_fmac_f32_e32 v12, 0xbf3f9e67, v72
	v_mul_f32_e32 v111, 0x3f116cb1, v50
	s_mov_b32 s15, 0x3f62ad3f
	v_add_f32_e32 v19, v58, v18
	v_fma_f32 v18, v38, s2, -v20
	v_add_f32_e32 v10, v12, v10
	v_mov_b32_e32 v12, v111
	v_mul_f32_e32 v112, 0xbeb58ec6, v53
	s_mov_b32 s3, 0xbf3f9e67
	v_add_f32_e32 v18, v0, v18
	v_fma_f32 v20, v39, s15, -v59
	v_fmac_f32_e32 v12, 0x3f52af12, v24
	v_mov_b32_e32 v13, v112
	s_mov_b32 s16, 0x3f116cb1
	v_add_f32_e32 v18, v20, v18
	v_fma_f32 v20, v61, s3, -v65
	v_add_f32_e32 v12, v1, v12
	v_fmac_f32_e32 v13, 0x3f6f5d39, v8
	v_mul_f32_e32 v113, 0xbf788fa5, v42
	s_mov_b32 s14, 0xbeb58ec6
	v_add_f32_e32 v18, v20, v18
	v_fma_f32 v20, v66, s16, -v68
	v_add_f32_e32 v12, v13, v12
	v_mov_b32_e32 v13, v113
	s_mov_b32 s17, 0x3df6dbef
	v_add_f32_e32 v18, v20, v18
	v_fma_f32 v20, v69, s14, -v71
	v_fmac_f32_e32 v13, 0x3e750f2a, v9
	v_mul_f32_e32 v114, 0xbf3f9e67, v31
	v_add_f32_e32 v18, v20, v18
	v_fma_f32 v20, v72, s17, -v74
	v_fmac_f32_e32 v75, 0xbf29c268, v24
	v_add_f32_e32 v12, v13, v12
	v_mov_b32_e32 v13, v114
	v_add_f32_e32 v18, v20, v18
	v_add_f32_e32 v20, v1, v75
	v_fmac_f32_e32 v76, 0x3f7e222b, v8
	v_fmac_f32_e32 v13, 0xbf29c268, v29
	v_mul_f32_e32 v115, 0x3df6dbef, v46
	v_add_f32_e32 v20, v76, v20
	v_fmac_f32_e32 v77, 0xbf52af12, v9
	v_add_f32_e32 v12, v13, v12
	v_mov_b32_e32 v13, v115
	v_add_f32_e32 v20, v77, v20
	v_fmac_f32_e32 v78, 0x3e750f2a, v29
	v_fmac_f32_e32 v13, 0xbf7e222b, v44
	v_mul_f32_e32 v116, 0x3f62ad3f, v57
	v_add_f32_e32 v20, v78, v20
	v_fmac_f32_e32 v79, 0x3eedf032, v44
	v_add_f32_e32 v12, v13, v12
	v_mov_b32_e32 v13, v116
	v_add_f32_e32 v20, v79, v20
	v_fmac_f32_e32 v80, 0xbf6f5d39, v36
	v_fmac_f32_e32 v13, 0xbeedf032, v36
	v_mul_f32_e32 v117, 0xbf52af12, v14
	v_add_f32_e32 v21, v80, v20
	v_fma_f32 v20, v38, s3, -v81
	v_add_f32_e32 v13, v13, v12
	v_mov_b32_e32 v12, v117
	v_mul_f32_e32 v118, 0xbf6f5d39, v15
	v_add_f32_e32 v20, v0, v20
	v_fma_f32 v22, v39, s17, -v82
	v_fmac_f32_e32 v12, 0x3f116cb1, v38
	v_mov_b32_e32 v119, v118
	v_add_f32_e32 v20, v22, v20
	v_fma_f32 v22, v61, s16, -v83
	v_add_f32_e32 v12, v0, v12
	v_fmac_f32_e32 v119, 0xbeb58ec6, v39
	v_add_f32_e32 v20, v22, v20
	v_fma_f32 v22, v66, s2, -v84
	v_add_f32_e32 v12, v119, v12
	v_mul_f32_e32 v119, 0xbe750f2a, v62
	v_add_f32_e32 v20, v22, v20
	v_fma_f32 v22, v69, s15, -v85
	v_mov_b32_e32 v120, v119
	v_add_f32_e32 v20, v22, v20
	v_fma_f32 v22, v72, s14, -v86
	v_fmac_f32_e32 v87, 0xbf6f5d39, v24
	v_fmac_f32_e32 v120, 0xbf788fa5, v61
	v_add_f32_e32 v20, v22, v20
	v_add_f32_e32 v22, v1, v87
	v_fmac_f32_e32 v88, 0x3f29c268, v8
	v_add_f32_e32 v12, v120, v12
	v_mul_f32_e32 v120, 0x3f29c268, v67
	v_add_f32_e32 v22, v88, v22
	v_fmac_f32_e32 v89, 0x3eedf032, v9
	v_mov_b32_e32 v121, v120
	v_add_f32_e32 v22, v89, v22
	v_fmac_f32_e32 v90, 0xbf7e222b, v29
	v_fmac_f32_e32 v121, 0xbf3f9e67, v66
	v_add_f32_e32 v22, v90, v22
	v_fmac_f32_e32 v91, 0x3e750f2a, v44
	v_add_f32_e32 v12, v121, v12
	v_mul_f32_e32 v121, 0x3f7e222b, v70
	v_add_f32_e32 v22, v91, v22
	v_fmac_f32_e32 v92, 0x3f52af12, v36
	v_mov_b32_e32 v122, v121
	v_add_f32_e32 v23, v92, v22
	v_fma_f32 v22, v38, s14, -v93
	v_fmac_f32_e32 v122, 0x3df6dbef, v69
	v_add_f32_e32 v22, v0, v22
	v_fma_f32 v25, v39, s3, -v94
	v_add_f32_e32 v12, v122, v12
	v_mul_f32_e32 v122, 0x3eedf032, v73
	v_add_f32_e32 v22, v25, v22
	v_fma_f32 v25, v61, s15, -v95
	v_mov_b32_e32 v123, v122
	v_add_f32_e32 v22, v25, v22
	v_fma_f32 v25, v66, s17, -v96
	v_fmac_f32_e32 v123, 0x3f62ad3f, v72
	v_mul_f32_e32 v50, 0x3f62ad3f, v50
	v_add_f32_e32 v22, v25, v22
	v_fma_f32 v25, v69, s2, -v97
	v_add_f32_e32 v12, v123, v12
	v_mov_b32_e32 v123, v50
	v_mul_f32_e32 v53, 0x3f116cb1, v53
	v_add_f32_e32 v22, v25, v22
	v_fma_f32 v25, v72, s16, -v98
	v_fmac_f32_e32 v99, 0xbf7e222b, v24
	v_fmac_f32_e32 v123, 0x3eedf032, v24
	v_mov_b32_e32 v124, v53
	v_add_f32_e32 v22, v25, v22
	v_add_f32_e32 v25, v1, v99
	v_fmac_f32_e32 v100, 0xbe750f2a, v8
	v_add_f32_e32 v123, v1, v123
	v_fmac_f32_e32 v124, 0x3f52af12, v8
	v_mul_f32_e32 v42, 0x3df6dbef, v42
	v_add_f32_e32 v25, v100, v25
	v_fmac_f32_e32 v101, 0x3f6f5d39, v9
	v_add_f32_e32 v123, v124, v123
	v_mov_b32_e32 v124, v42
	v_add_f32_e32 v25, v101, v25
	v_fmac_f32_e32 v102, 0x3eedf032, v29
	v_fmac_f32_e32 v124, 0x3f7e222b, v9
	v_mul_f32_e32 v31, 0xbeb58ec6, v31
	v_add_f32_e32 v25, v102, v25
	v_fmac_f32_e32 v103, 0xbf52af12, v44
	v_add_f32_e32 v123, v124, v123
	v_mov_b32_e32 v124, v31
	v_add_f32_e32 v25, v103, v25
	v_fmac_f32_e32 v104, 0xbf29c268, v36
	v_fmac_f32_e32 v124, 0x3f6f5d39, v29
	v_mul_f32_e32 v46, 0xbf3f9e67, v46
	v_add_f32_e32 v16, v26, v16
	v_add_f32_e32 v26, v104, v25
	v_fma_f32 v25, v38, s17, -v105
	v_add_f32_e32 v123, v124, v123
	v_mov_b32_e32 v124, v46
	v_add_f32_e32 v25, v0, v25
	v_fma_f32 v27, v39, s2, -v106
	v_fmac_f32_e32 v124, 0x3f29c268, v44
	v_add_f32_e32 v25, v27, v25
	v_fma_f32 v27, v61, s14, -v107
	v_add_f32_e32 v123, v124, v123
	v_mul_f32_e32 v124, 0xbeedf032, v14
	v_add_f32_e32 v25, v27, v25
	v_fma_f32 v27, v66, s15, -v108
	v_mov_b32_e32 v14, v124
	v_mul_f32_e32 v125, 0xbf52af12, v15
	v_add_f32_e32 v25, v27, v25
	v_fma_f32 v27, v69, s16, -v109
	v_fmac_f32_e32 v14, 0x3f62ad3f, v38
	v_mov_b32_e32 v15, v125
	v_add_f32_e32 v25, v27, v25
	v_fma_f32 v27, v72, s3, -v110
	v_fmac_f32_e32 v111, 0xbf52af12, v24
	v_add_f32_e32 v14, v0, v14
	v_fmac_f32_e32 v15, 0x3f116cb1, v39
	v_mul_f32_e32 v62, 0xbf7e222b, v62
	v_add_f32_e32 v25, v27, v25
	v_add_f32_e32 v27, v1, v111
	v_fmac_f32_e32 v112, 0xbf6f5d39, v8
	v_add_f32_e32 v14, v15, v14
	v_mov_b32_e32 v15, v62
	v_add_f32_e32 v27, v112, v27
	v_fmac_f32_e32 v113, 0xbe750f2a, v9
	v_fmac_f32_e32 v15, 0x3df6dbef, v61
	v_mul_f32_e32 v67, 0xbf6f5d39, v67
	v_add_f32_e32 v27, v113, v27
	v_fmac_f32_e32 v114, 0x3f29c268, v29
	v_add_f32_e32 v14, v15, v14
	v_mov_b32_e32 v15, v67
	v_add_f32_e32 v27, v114, v27
	v_fmac_f32_e32 v115, 0x3f7e222b, v44
	v_fmac_f32_e32 v15, 0xbeb58ec6, v66
	v_mul_f32_e32 v70, 0xbf29c268, v70
	v_add_f32_e32 v27, v115, v27
	v_fmac_f32_e32 v116, 0x3eedf032, v36
	v_add_f32_e32 v14, v15, v14
	v_mov_b32_e32 v15, v70
	v_add_f32_e32 v28, v116, v27
	v_fma_f32 v27, v38, s16, -v117
	v_fmac_f32_e32 v53, 0xbf52af12, v8
	v_fma_f32 v8, v38, s15, -v124
	v_fmac_f32_e32 v15, 0xbf3f9e67, v69
	v_mul_f32_e32 v57, 0xbf788fa5, v57
	v_add_f32_e32 v27, v0, v27
	v_add_f32_e32 v0, v0, v8
	v_fma_f32 v8, v39, s16, -v125
	v_add_f32_e32 v14, v15, v14
	v_mov_b32_e32 v15, v57
	v_add_f32_e32 v0, v8, v0
	v_fma_f32 v8, v61, s17, -v62
	v_fmac_f32_e32 v15, 0x3e750f2a, v36
	v_mul_f32_e32 v73, 0xbe750f2a, v73
	v_add_f32_e32 v0, v8, v0
	v_fma_f32 v8, v66, s14, -v67
	v_add_f32_e32 v15, v15, v123
	v_mov_b32_e32 v123, v73
	v_add_f32_e32 v17, v32, v17
	v_fma_f32 v30, v39, s14, -v118
	v_fmac_f32_e32 v50, 0xbeedf032, v24
	v_add_f32_e32 v0, v8, v0
	v_fma_f32 v8, v69, s3, -v70
	v_fmac_f32_e32 v123, 0xbf788fa5, v72
	v_add_f32_e32 v17, v34, v17
	v_add_f32_e32 v27, v30, v27
	v_fma_f32 v30, v61, s2, -v119
	v_add_f32_e32 v1, v1, v50
	v_add_f32_e32 v0, v8, v0
	v_fma_f32 v8, v72, s2, -v73
	v_add_f32_e32 v14, v123, v14
	v_add_f32_e32 v17, v48, v17
	;; [unrolled: 1-line block ×4, first 2 shown]
	v_fma_f32 v30, v66, s3, -v120
	v_add_f32_e32 v1, v53, v1
	v_fmac_f32_e32 v42, 0xbf7e222b, v9
	v_add_f32_e32 v0, v8, v0
	v_add_u32_e32 v8, 0x400, v63
	v_add_f32_e32 v27, v30, v27
	v_fma_f32 v30, v69, s17, -v121
	v_add_f32_e32 v1, v42, v1
	v_fmac_f32_e32 v31, 0xbf6f5d39, v29
	ds_write2_b64 v63, v[16:17], v[14:15] offset1:63
	ds_write2_b64 v63, v[12:13], v[10:11] offset0:126 offset1:189
	ds_write2_b64 v8, v[6:7], v[4:5] offset0:124 offset1:187
	v_add_u32_e32 v4, 0x800, v63
	v_add_f32_e32 v27, v30, v27
	v_fma_f32 v30, v72, s15, -v122
	v_add_f32_e32 v1, v31, v1
	v_fmac_f32_e32 v46, 0xbf29c268, v44
	ds_write2_b64 v4, v[2:3], v[18:19] offset0:122 offset1:185
	v_add_u32_e32 v2, 0xc00, v63
	v_add_f32_e32 v27, v30, v27
	v_add_f32_e32 v1, v46, v1
	v_fmac_f32_e32 v57, 0xbe750f2a, v36
	ds_write2_b64 v2, v[20:21], v[22:23] offset0:120 offset1:183
	v_add_u32_e32 v2, 0x1000, v63
	v_add_f32_e32 v1, v57, v1
	ds_write2_b64 v2, v[25:26], v[27:28] offset0:118 offset1:181
	ds_write_b64 v63, v[0:1] offset:6048
.LBB0_21:
	s_or_b64 exec, exec, s[12:13]
	s_waitcnt lgkmcnt(0)
	s_barrier
	s_and_b64 exec, exec, s[0:1]
	s_cbranch_execz .LBB0_23
; %bb.22:
	global_load_dwordx2 v[8:9], v63, s[10:11]
	global_load_dwordx2 v[10:11], v63, s[10:11] offset:728
	global_load_dwordx2 v[12:13], v63, s[10:11] offset:1456
	;; [unrolled: 1-line block ×3, first 2 shown]
	ds_read_b64 v[16:17], v63
	ds_read2_b64 v[0:3], v63 offset0:91 offset1:182
	global_load_dwordx2 v[22:23], v63, s[10:11] offset:2912
	global_load_dwordx2 v[24:25], v63, s[10:11] offset:3640
	v_mad_u64_u32 v[18:19], s[0:1], s6, v60, 0
	v_mad_u64_u32 v[20:21], s[2:3], s4, v64, 0
	v_mov_b32_e32 v4, s11
	v_add_co_u32_e32 v26, vcc, s10, v63
	s_mul_i32 s3, s5, 0x2d8
	s_mul_hi_u32 s6, s4, 0x2d8
	s_mul_i32 s2, s4, 0x2d8
	s_movk_i32 s4, 0x1000
	v_addc_co_u32_e32 v27, vcc, 0, v4, vcc
	s_add_i32 s3, s6, s3
	v_add_co_u32_e32 v26, vcc, s4, v26
	v_mad_u64_u32 v[28:29], s[6:7], s7, v60, v[19:20]
	v_add_u32_e32 v5, 0x800, v63
	v_addc_co_u32_e32 v27, vcc, 0, v27, vcc
	ds_read2_b64 v[4:7], v5 offset0:17 offset1:108
	v_mov_b32_e32 v19, v28
	s_mov_b32 s0, 0x14014014
	s_mov_b32 s1, 0x3f540140
	v_lshlrev_b64 v[18:19], 3, v[18:19]
	v_mov_b32_e32 v36, s9
	v_add_co_u32_e32 v18, vcc, s8, v18
	v_addc_co_u32_e32 v19, vcc, v36, v19, vcc
	v_mov_b32_e32 v37, s3
	v_mov_b32_e32 v38, s3
	s_waitcnt vmcnt(3) lgkmcnt(1)
	v_mul_f32_e32 v28, v3, v13
	v_mul_f32_e32 v13, v2, v13
	v_fmac_f32_e32 v28, v2, v12
	s_waitcnt vmcnt(1)
	v_mad_u64_u32 v[29:30], s[4:5], s5, v64, v[21:22]
	global_load_dwordx2 v[30:31], v[26:27], off offset:272
	global_load_dwordx2 v[32:33], v[26:27], off offset:1000
	;; [unrolled: 1-line block ×3, first 2 shown]
	v_mul_f32_e32 v26, v17, v9
	v_mul_f32_e32 v9, v16, v9
	;; [unrolled: 1-line block ×4, first 2 shown]
	v_fmac_f32_e32 v26, v16, v8
	v_fma_f32 v8, v8, v17, -v9
	v_mov_b32_e32 v21, v29
	s_waitcnt lgkmcnt(0)
	v_mul_f32_e32 v29, v5, v15
	v_mul_f32_e32 v15, v4, v15
	v_fmac_f32_e32 v27, v0, v10
	v_fma_f32 v9, v10, v1, -v11
	v_fma_f32 v12, v12, v3, -v13
	v_cvt_f64_f32_e32 v[0:1], v26
	v_cvt_f64_f32_e32 v[2:3], v8
	v_fmac_f32_e32 v29, v4, v14
	v_fma_f32 v16, v14, v5, -v15
	v_cvt_f64_f32_e32 v[4:5], v27
	v_cvt_f64_f32_e32 v[8:9], v9
	v_mul_f64 v[0:1], v[0:1], s[0:1]
	v_mul_f64 v[2:3], v[2:3], s[0:1]
	;; [unrolled: 1-line block ×4, first 2 shown]
	v_cvt_f64_f32_e32 v[10:11], v28
	v_cvt_f64_f32_e32 v[12:13], v12
	v_lshlrev_b64 v[20:21], 3, v[20:21]
	v_cvt_f64_f32_e32 v[16:17], v16
	v_mul_f64 v[10:11], v[10:11], s[0:1]
	v_mul_f64 v[12:13], v[12:13], s[0:1]
	v_cvt_f32_f64_e32 v0, v[0:1]
	v_cvt_f32_f64_e32 v1, v[2:3]
	v_add_co_u32_e32 v18, vcc, v18, v20
	v_cvt_f32_f64_e32 v2, v[4:5]
	v_cvt_f32_f64_e32 v3, v[8:9]
	v_addc_co_u32_e32 v19, vcc, v19, v21, vcc
	v_cvt_f64_f32_e32 v[14:15], v29
	v_add_co_u32_e32 v20, vcc, s2, v18
	v_addc_co_u32_e32 v21, vcc, v19, v37, vcc
	global_store_dwordx2 v[18:19], v[0:1], off
	global_store_dwordx2 v[20:21], v[2:3], off
	v_mul_f64 v[0:1], v[16:17], s[0:1]
	v_mul_f64 v[14:15], v[14:15], s[0:1]
	v_cvt_f32_f64_e32 v4, v[10:11]
	v_cvt_f32_f64_e32 v5, v[12:13]
	v_mul_f32_e32 v2, v7, v23
	v_add_co_u32_e32 v8, vcc, s2, v20
	v_fmac_f32_e32 v2, v6, v22
	v_addc_co_u32_e32 v9, vcc, v21, v38, vcc
	v_cvt_f64_f32_e32 v[2:3], v2
	global_store_dwordx2 v[8:9], v[4:5], off
	v_mul_f32_e32 v5, v6, v23
	v_fma_f32 v5, v22, v7, -v5
	v_cvt_f64_f32_e32 v[6:7], v5
	v_cvt_f32_f64_e32 v5, v[0:1]
	v_add_u32_e32 v0, 0xc00, v63
	v_mul_f64 v[10:11], v[2:3], s[0:1]
	ds_read2_b64 v[0:3], v0 offset0:71 offset1:162
	v_cvt_f32_f64_e32 v4, v[14:15]
	v_mov_b32_e32 v12, s3
	v_add_co_u32_e32 v8, vcc, s2, v8
	v_addc_co_u32_e32 v9, vcc, v9, v12, vcc
	global_store_dwordx2 v[8:9], v[4:5], off
	s_waitcnt vmcnt(7) lgkmcnt(0)
	v_mul_f32_e32 v4, v1, v25
	v_fmac_f32_e32 v4, v0, v24
	v_cvt_f64_f32_e32 v[4:5], v4
	v_mul_f64 v[6:7], v[6:7], s[0:1]
	v_mul_f32_e32 v0, v0, v25
	v_fma_f32 v0, v24, v1, -v0
	v_mul_f64 v[4:5], v[4:5], s[0:1]
	v_cvt_f64_f32_e32 v[0:1], v0
	v_cvt_f32_f64_e32 v10, v[10:11]
	v_mul_f64 v[0:1], v[0:1], s[0:1]
	v_cvt_f32_f64_e32 v11, v[6:7]
	v_mov_b32_e32 v7, s3
	v_cvt_f32_f64_e32 v4, v[4:5]
	s_waitcnt vmcnt(6)
	v_mul_f32_e32 v5, v3, v31
	v_add_co_u32_e32 v6, vcc, s2, v8
	v_fmac_f32_e32 v5, v2, v30
	v_addc_co_u32_e32 v7, vcc, v9, v7, vcc
	v_cvt_f64_f32_e32 v[8:9], v5
	v_mul_f32_e32 v2, v2, v31
	v_fma_f32 v2, v30, v3, -v2
	v_cvt_f64_f32_e32 v[2:3], v2
	v_mul_f64 v[8:9], v[8:9], s[0:1]
	global_store_dwordx2 v[6:7], v[10:11], off
	v_cvt_f32_f64_e32 v5, v[0:1]
	v_mov_b32_e32 v0, s3
	v_add_co_u32_e32 v6, vcc, s2, v6
	v_addc_co_u32_e32 v7, vcc, v7, v0, vcc
	v_add_u32_e32 v0, 0x1000, v63
	v_mul_f64 v[10:11], v[2:3], s[0:1]
	ds_read2_b64 v[0:3], v0 offset0:125 offset1:216
	global_store_dwordx2 v[6:7], v[4:5], off
	v_cvt_f32_f64_e32 v4, v[8:9]
	v_add_co_u32_e32 v6, vcc, s2, v6
	s_waitcnt vmcnt(7) lgkmcnt(0)
	v_mul_f32_e32 v8, v1, v33
	v_fmac_f32_e32 v8, v0, v32
	v_mul_f32_e32 v0, v0, v33
	v_fma_f32 v0, v32, v1, -v0
	v_cvt_f32_f64_e32 v5, v[10:11]
	v_cvt_f64_f32_e32 v[8:9], v8
	v_cvt_f64_f32_e32 v[0:1], v0
	v_mov_b32_e32 v10, s3
	v_addc_co_u32_e32 v7, vcc, v7, v10, vcc
	global_store_dwordx2 v[6:7], v[4:5], off
	v_mul_f64 v[4:5], v[8:9], s[0:1]
	v_mul_f64 v[0:1], v[0:1], s[0:1]
	s_waitcnt vmcnt(7)
	v_mul_f32_e32 v8, v3, v35
	v_fmac_f32_e32 v8, v2, v34
	v_mul_f32_e32 v2, v2, v35
	v_fma_f32 v2, v34, v3, -v2
	v_cvt_f64_f32_e32 v[8:9], v8
	v_cvt_f64_f32_e32 v[2:3], v2
	v_cvt_f32_f64_e32 v4, v[4:5]
	v_cvt_f32_f64_e32 v5, v[0:1]
	v_mul_f64 v[0:1], v[8:9], s[0:1]
	v_mul_f64 v[2:3], v[2:3], s[0:1]
	v_mov_b32_e32 v8, s3
	v_add_co_u32_e32 v6, vcc, s2, v6
	v_addc_co_u32_e32 v7, vcc, v7, v8, vcc
	global_store_dwordx2 v[6:7], v[4:5], off
	v_cvt_f32_f64_e32 v0, v[0:1]
	v_cvt_f32_f64_e32 v1, v[2:3]
	v_mov_b32_e32 v3, s3
	v_add_co_u32_e32 v2, vcc, s2, v6
	v_addc_co_u32_e32 v3, vcc, v7, v3, vcc
	global_store_dwordx2 v[2:3], v[0:1], off
.LBB0_23:
	s_endpgm
	.section	.rodata,"a",@progbits
	.p2align	6, 0x0
	.amdhsa_kernel bluestein_single_back_len819_dim1_sp_op_CI_CI
		.amdhsa_group_segment_fixed_size 6552
		.amdhsa_private_segment_fixed_size 0
		.amdhsa_kernarg_size 104
		.amdhsa_user_sgpr_count 6
		.amdhsa_user_sgpr_private_segment_buffer 1
		.amdhsa_user_sgpr_dispatch_ptr 0
		.amdhsa_user_sgpr_queue_ptr 0
		.amdhsa_user_sgpr_kernarg_segment_ptr 1
		.amdhsa_user_sgpr_dispatch_id 0
		.amdhsa_user_sgpr_flat_scratch_init 0
		.amdhsa_user_sgpr_private_segment_size 0
		.amdhsa_uses_dynamic_stack 0
		.amdhsa_system_sgpr_private_segment_wavefront_offset 0
		.amdhsa_system_sgpr_workgroup_id_x 1
		.amdhsa_system_sgpr_workgroup_id_y 0
		.amdhsa_system_sgpr_workgroup_id_z 0
		.amdhsa_system_sgpr_workgroup_info 0
		.amdhsa_system_vgpr_workitem_id 0
		.amdhsa_next_free_vgpr 126
		.amdhsa_next_free_sgpr 18
		.amdhsa_reserve_vcc 1
		.amdhsa_reserve_flat_scratch 0
		.amdhsa_float_round_mode_32 0
		.amdhsa_float_round_mode_16_64 0
		.amdhsa_float_denorm_mode_32 3
		.amdhsa_float_denorm_mode_16_64 3
		.amdhsa_dx10_clamp 1
		.amdhsa_ieee_mode 1
		.amdhsa_fp16_overflow 0
		.amdhsa_exception_fp_ieee_invalid_op 0
		.amdhsa_exception_fp_denorm_src 0
		.amdhsa_exception_fp_ieee_div_zero 0
		.amdhsa_exception_fp_ieee_overflow 0
		.amdhsa_exception_fp_ieee_underflow 0
		.amdhsa_exception_fp_ieee_inexact 0
		.amdhsa_exception_int_div_zero 0
	.end_amdhsa_kernel
	.text
.Lfunc_end0:
	.size	bluestein_single_back_len819_dim1_sp_op_CI_CI, .Lfunc_end0-bluestein_single_back_len819_dim1_sp_op_CI_CI
                                        ; -- End function
	.section	.AMDGPU.csdata,"",@progbits
; Kernel info:
; codeLenInByte = 11892
; NumSgprs: 22
; NumVgprs: 126
; ScratchSize: 0
; MemoryBound: 0
; FloatMode: 240
; IeeeMode: 1
; LDSByteSize: 6552 bytes/workgroup (compile time only)
; SGPRBlocks: 2
; VGPRBlocks: 31
; NumSGPRsForWavesPerEU: 22
; NumVGPRsForWavesPerEU: 126
; Occupancy: 2
; WaveLimiterHint : 1
; COMPUTE_PGM_RSRC2:SCRATCH_EN: 0
; COMPUTE_PGM_RSRC2:USER_SGPR: 6
; COMPUTE_PGM_RSRC2:TRAP_HANDLER: 0
; COMPUTE_PGM_RSRC2:TGID_X_EN: 1
; COMPUTE_PGM_RSRC2:TGID_Y_EN: 0
; COMPUTE_PGM_RSRC2:TGID_Z_EN: 0
; COMPUTE_PGM_RSRC2:TIDIG_COMP_CNT: 0
	.type	__hip_cuid_e1095c61a213c523,@object ; @__hip_cuid_e1095c61a213c523
	.section	.bss,"aw",@nobits
	.globl	__hip_cuid_e1095c61a213c523
__hip_cuid_e1095c61a213c523:
	.byte	0                               ; 0x0
	.size	__hip_cuid_e1095c61a213c523, 1

	.ident	"AMD clang version 19.0.0git (https://github.com/RadeonOpenCompute/llvm-project roc-6.4.0 25133 c7fe45cf4b819c5991fe208aaa96edf142730f1d)"
	.section	".note.GNU-stack","",@progbits
	.addrsig
	.addrsig_sym __hip_cuid_e1095c61a213c523
	.amdgpu_metadata
---
amdhsa.kernels:
  - .args:
      - .actual_access:  read_only
        .address_space:  global
        .offset:         0
        .size:           8
        .value_kind:     global_buffer
      - .actual_access:  read_only
        .address_space:  global
        .offset:         8
        .size:           8
        .value_kind:     global_buffer
      - .actual_access:  read_only
        .address_space:  global
        .offset:         16
        .size:           8
        .value_kind:     global_buffer
      - .actual_access:  read_only
        .address_space:  global
        .offset:         24
        .size:           8
        .value_kind:     global_buffer
      - .actual_access:  read_only
        .address_space:  global
        .offset:         32
        .size:           8
        .value_kind:     global_buffer
      - .offset:         40
        .size:           8
        .value_kind:     by_value
      - .address_space:  global
        .offset:         48
        .size:           8
        .value_kind:     global_buffer
      - .address_space:  global
        .offset:         56
        .size:           8
        .value_kind:     global_buffer
      - .address_space:  global
        .offset:         64
        .size:           8
        .value_kind:     global_buffer
      - .address_space:  global
        .offset:         72
        .size:           8
        .value_kind:     global_buffer
      - .offset:         80
        .size:           4
        .value_kind:     by_value
      - .address_space:  global
        .offset:         88
        .size:           8
        .value_kind:     global_buffer
      - .address_space:  global
        .offset:         96
        .size:           8
        .value_kind:     global_buffer
    .group_segment_fixed_size: 6552
    .kernarg_segment_align: 8
    .kernarg_segment_size: 104
    .language:       OpenCL C
    .language_version:
      - 2
      - 0
    .max_flat_workgroup_size: 117
    .name:           bluestein_single_back_len819_dim1_sp_op_CI_CI
    .private_segment_fixed_size: 0
    .sgpr_count:     22
    .sgpr_spill_count: 0
    .symbol:         bluestein_single_back_len819_dim1_sp_op_CI_CI.kd
    .uniform_work_group_size: 1
    .uses_dynamic_stack: false
    .vgpr_count:     126
    .vgpr_spill_count: 0
    .wavefront_size: 64
amdhsa.target:   amdgcn-amd-amdhsa--gfx906
amdhsa.version:
  - 1
  - 2
...

	.end_amdgpu_metadata
